;; amdgpu-corpus repo=ROCm/rocFFT kind=compiled arch=gfx906 opt=O3
	.text
	.amdgcn_target "amdgcn-amd-amdhsa--gfx906"
	.amdhsa_code_object_version 6
	.protected	fft_rtc_back_len2880_factors_10_6_6_2_2_2_wgs_96_tpt_96_halfLds_half_op_CI_CI_unitstride_sbrr_C2R_dirReg ; -- Begin function fft_rtc_back_len2880_factors_10_6_6_2_2_2_wgs_96_tpt_96_halfLds_half_op_CI_CI_unitstride_sbrr_C2R_dirReg
	.globl	fft_rtc_back_len2880_factors_10_6_6_2_2_2_wgs_96_tpt_96_halfLds_half_op_CI_CI_unitstride_sbrr_C2R_dirReg
	.p2align	8
	.type	fft_rtc_back_len2880_factors_10_6_6_2_2_2_wgs_96_tpt_96_halfLds_half_op_CI_CI_unitstride_sbrr_C2R_dirReg,@function
fft_rtc_back_len2880_factors_10_6_6_2_2_2_wgs_96_tpt_96_halfLds_half_op_CI_CI_unitstride_sbrr_C2R_dirReg: ; @fft_rtc_back_len2880_factors_10_6_6_2_2_2_wgs_96_tpt_96_halfLds_half_op_CI_CI_unitstride_sbrr_C2R_dirReg
; %bb.0:
	s_load_dwordx4 s[8:11], s[4:5], 0x58
	s_load_dwordx4 s[12:15], s[4:5], 0x0
	;; [unrolled: 1-line block ×3, first 2 shown]
	v_mul_u32_u24_e32 v1, 0x2ab, v0
	v_add_u32_sdwa v5, s6, v1 dst_sel:DWORD dst_unused:UNUSED_PAD src0_sel:DWORD src1_sel:WORD_1
	v_mov_b32_e32 v3, 0
	s_waitcnt lgkmcnt(0)
	v_cmp_lt_u64_e64 s[0:1], s[14:15], 2
	v_mov_b32_e32 v1, 0
	v_mov_b32_e32 v6, v3
	s_and_b64 vcc, exec, s[0:1]
	v_mov_b32_e32 v2, 0
	s_cbranch_vccnz .LBB0_8
; %bb.1:
	s_load_dwordx2 s[0:1], s[4:5], 0x10
	s_add_u32 s2, s18, 8
	s_addc_u32 s3, s19, 0
	s_add_u32 s6, s16, 8
	v_mov_b32_e32 v1, 0
	s_addc_u32 s7, s17, 0
	v_mov_b32_e32 v2, 0
	s_waitcnt lgkmcnt(0)
	s_add_u32 s20, s0, 8
	v_mov_b32_e32 v9, v2
	s_addc_u32 s21, s1, 0
	s_mov_b64 s[22:23], 1
	v_mov_b32_e32 v8, v1
.LBB0_2:                                ; =>This Inner Loop Header: Depth=1
	s_load_dwordx2 s[24:25], s[20:21], 0x0
                                        ; implicit-def: $vgpr12_vgpr13
	s_waitcnt lgkmcnt(0)
	v_or_b32_e32 v4, s25, v6
	v_cmp_ne_u64_e32 vcc, 0, v[3:4]
	s_and_saveexec_b64 s[0:1], vcc
	s_xor_b64 s[26:27], exec, s[0:1]
	s_cbranch_execz .LBB0_4
; %bb.3:                                ;   in Loop: Header=BB0_2 Depth=1
	v_cvt_f32_u32_e32 v4, s24
	v_cvt_f32_u32_e32 v7, s25
	s_sub_u32 s0, 0, s24
	s_subb_u32 s1, 0, s25
	v_mac_f32_e32 v4, 0x4f800000, v7
	v_rcp_f32_e32 v4, v4
	v_mul_f32_e32 v4, 0x5f7ffffc, v4
	v_mul_f32_e32 v7, 0x2f800000, v4
	v_trunc_f32_e32 v7, v7
	v_mac_f32_e32 v4, 0xcf800000, v7
	v_cvt_u32_f32_e32 v7, v7
	v_cvt_u32_f32_e32 v4, v4
	v_mul_lo_u32 v10, s0, v7
	v_mul_hi_u32 v11, s0, v4
	v_mul_lo_u32 v13, s1, v4
	v_mul_lo_u32 v12, s0, v4
	v_add_u32_e32 v10, v11, v10
	v_add_u32_e32 v10, v10, v13
	v_mul_hi_u32 v11, v4, v12
	v_mul_lo_u32 v13, v4, v10
	v_mul_hi_u32 v15, v4, v10
	v_mul_hi_u32 v14, v7, v12
	v_mul_lo_u32 v12, v7, v12
	v_mul_hi_u32 v16, v7, v10
	v_add_co_u32_e32 v11, vcc, v11, v13
	v_addc_co_u32_e32 v13, vcc, 0, v15, vcc
	v_mul_lo_u32 v10, v7, v10
	v_add_co_u32_e32 v11, vcc, v11, v12
	v_addc_co_u32_e32 v11, vcc, v13, v14, vcc
	v_addc_co_u32_e32 v12, vcc, 0, v16, vcc
	v_add_co_u32_e32 v10, vcc, v11, v10
	v_addc_co_u32_e32 v11, vcc, 0, v12, vcc
	v_add_co_u32_e32 v4, vcc, v4, v10
	v_addc_co_u32_e32 v7, vcc, v7, v11, vcc
	v_mul_lo_u32 v10, s0, v7
	v_mul_hi_u32 v11, s0, v4
	v_mul_lo_u32 v12, s1, v4
	v_mul_lo_u32 v13, s0, v4
	v_add_u32_e32 v10, v11, v10
	v_add_u32_e32 v10, v10, v12
	v_mul_lo_u32 v14, v4, v10
	v_mul_hi_u32 v15, v4, v13
	v_mul_hi_u32 v16, v4, v10
	v_mul_hi_u32 v12, v7, v13
	v_mul_lo_u32 v13, v7, v13
	v_mul_hi_u32 v11, v7, v10
	v_add_co_u32_e32 v14, vcc, v15, v14
	v_addc_co_u32_e32 v15, vcc, 0, v16, vcc
	v_mul_lo_u32 v10, v7, v10
	v_add_co_u32_e32 v13, vcc, v14, v13
	v_addc_co_u32_e32 v12, vcc, v15, v12, vcc
	v_addc_co_u32_e32 v11, vcc, 0, v11, vcc
	v_add_co_u32_e32 v10, vcc, v12, v10
	v_addc_co_u32_e32 v11, vcc, 0, v11, vcc
	v_add_co_u32_e32 v4, vcc, v4, v10
	v_addc_co_u32_e32 v7, vcc, v7, v11, vcc
	v_mad_u64_u32 v[10:11], s[0:1], v5, v7, 0
	v_mul_hi_u32 v12, v5, v4
	v_add_co_u32_e32 v14, vcc, v12, v10
	v_addc_co_u32_e32 v15, vcc, 0, v11, vcc
	v_mad_u64_u32 v[10:11], s[0:1], v6, v4, 0
	v_mad_u64_u32 v[12:13], s[0:1], v6, v7, 0
	v_add_co_u32_e32 v4, vcc, v14, v10
	v_addc_co_u32_e32 v4, vcc, v15, v11, vcc
	v_addc_co_u32_e32 v7, vcc, 0, v13, vcc
	v_add_co_u32_e32 v4, vcc, v4, v12
	v_addc_co_u32_e32 v7, vcc, 0, v7, vcc
	v_mul_lo_u32 v12, s25, v4
	v_mul_lo_u32 v13, s24, v7
	v_mad_u64_u32 v[10:11], s[0:1], s24, v4, 0
	v_add3_u32 v11, v11, v13, v12
	v_sub_u32_e32 v12, v6, v11
	v_mov_b32_e32 v13, s25
	v_sub_co_u32_e32 v10, vcc, v5, v10
	v_subb_co_u32_e64 v12, s[0:1], v12, v13, vcc
	v_subrev_co_u32_e64 v13, s[0:1], s24, v10
	v_subbrev_co_u32_e64 v12, s[0:1], 0, v12, s[0:1]
	v_cmp_le_u32_e64 s[0:1], s25, v12
	v_cndmask_b32_e64 v14, 0, -1, s[0:1]
	v_cmp_le_u32_e64 s[0:1], s24, v13
	v_cndmask_b32_e64 v13, 0, -1, s[0:1]
	v_cmp_eq_u32_e64 s[0:1], s25, v12
	v_cndmask_b32_e64 v12, v14, v13, s[0:1]
	v_add_co_u32_e64 v14, s[0:1], 2, v4
	v_addc_co_u32_e64 v13, s[0:1], 0, v7, s[0:1]
	v_add_co_u32_e64 v15, s[0:1], 1, v4
	v_addc_co_u32_e64 v16, s[0:1], 0, v7, s[0:1]
	v_subb_co_u32_e32 v11, vcc, v6, v11, vcc
	v_cmp_ne_u32_e64 s[0:1], 0, v12
	v_cmp_le_u32_e32 vcc, s25, v11
	v_cndmask_b32_e64 v12, v16, v13, s[0:1]
	v_cndmask_b32_e64 v13, 0, -1, vcc
	v_cmp_le_u32_e32 vcc, s24, v10
	v_cndmask_b32_e64 v10, 0, -1, vcc
	v_cmp_eq_u32_e32 vcc, s25, v11
	v_cndmask_b32_e32 v10, v13, v10, vcc
	v_cmp_ne_u32_e32 vcc, 0, v10
	v_cndmask_b32_e32 v13, v7, v12, vcc
	v_cndmask_b32_e64 v7, v15, v14, s[0:1]
	v_cndmask_b32_e32 v12, v4, v7, vcc
.LBB0_4:                                ;   in Loop: Header=BB0_2 Depth=1
	s_andn2_saveexec_b64 s[0:1], s[26:27]
	s_cbranch_execz .LBB0_6
; %bb.5:                                ;   in Loop: Header=BB0_2 Depth=1
	v_cvt_f32_u32_e32 v4, s24
	s_sub_i32 s26, 0, s24
	v_mov_b32_e32 v13, v3
	v_rcp_iflag_f32_e32 v4, v4
	v_mul_f32_e32 v4, 0x4f7ffffe, v4
	v_cvt_u32_f32_e32 v4, v4
	v_mul_lo_u32 v7, s26, v4
	v_mul_hi_u32 v7, v4, v7
	v_add_u32_e32 v4, v4, v7
	v_mul_hi_u32 v4, v5, v4
	v_mul_lo_u32 v7, v4, s24
	v_add_u32_e32 v10, 1, v4
	v_sub_u32_e32 v7, v5, v7
	v_subrev_u32_e32 v11, s24, v7
	v_cmp_le_u32_e32 vcc, s24, v7
	v_cndmask_b32_e32 v7, v7, v11, vcc
	v_cndmask_b32_e32 v4, v4, v10, vcc
	v_add_u32_e32 v10, 1, v4
	v_cmp_le_u32_e32 vcc, s24, v7
	v_cndmask_b32_e32 v12, v4, v10, vcc
.LBB0_6:                                ;   in Loop: Header=BB0_2 Depth=1
	s_or_b64 exec, exec, s[0:1]
	v_mul_lo_u32 v4, v13, s24
	v_mul_lo_u32 v7, v12, s25
	v_mad_u64_u32 v[10:11], s[0:1], v12, s24, 0
	s_load_dwordx2 s[0:1], s[6:7], 0x0
	s_load_dwordx2 s[24:25], s[2:3], 0x0
	v_add3_u32 v4, v11, v7, v4
	v_sub_co_u32_e32 v5, vcc, v5, v10
	v_subb_co_u32_e32 v4, vcc, v6, v4, vcc
	s_waitcnt lgkmcnt(0)
	v_mul_lo_u32 v6, s0, v4
	v_mul_lo_u32 v7, s1, v5
	v_mad_u64_u32 v[1:2], s[0:1], s0, v5, v[1:2]
	v_mul_lo_u32 v4, s24, v4
	v_mul_lo_u32 v10, s25, v5
	v_mad_u64_u32 v[8:9], s[0:1], s24, v5, v[8:9]
	s_add_u32 s22, s22, 1
	s_addc_u32 s23, s23, 0
	s_add_u32 s2, s2, 8
	v_add3_u32 v9, v10, v9, v4
	s_addc_u32 s3, s3, 0
	v_mov_b32_e32 v4, s14
	s_add_u32 s6, s6, 8
	v_mov_b32_e32 v5, s15
	s_addc_u32 s7, s7, 0
	v_cmp_ge_u64_e32 vcc, s[22:23], v[4:5]
	s_add_u32 s20, s20, 8
	v_add3_u32 v2, v7, v2, v6
	s_addc_u32 s21, s21, 0
	s_cbranch_vccnz .LBB0_9
; %bb.7:                                ;   in Loop: Header=BB0_2 Depth=1
	v_mov_b32_e32 v5, v12
	v_mov_b32_e32 v6, v13
	s_branch .LBB0_2
.LBB0_8:
	v_mov_b32_e32 v9, v2
	v_mov_b32_e32 v13, v6
	;; [unrolled: 1-line block ×4, first 2 shown]
.LBB0_9:
	s_load_dwordx2 s[4:5], s[4:5], 0x28
	s_lshl_b64 s[6:7], s[14:15], 3
	s_add_u32 s2, s18, s6
	s_addc_u32 s3, s19, s7
                                        ; implicit-def: $vgpr10
                                        ; implicit-def: $vgpr3_vgpr4
	s_waitcnt lgkmcnt(0)
	v_cmp_gt_u64_e64 s[0:1], s[4:5], v[12:13]
	v_cmp_le_u64_e32 vcc, s[4:5], v[12:13]
	s_and_saveexec_b64 s[4:5], vcc
	s_xor_b64 s[4:5], exec, s[4:5]
; %bb.10:
	s_mov_b32 s14, 0x2aaaaab
	v_mul_hi_u32 v1, v0, s14
	v_mov_b32_e32 v11, 0
	v_mul_u32_u24_e32 v1, 0x60, v1
	v_sub_u32_e32 v10, v0, v1
	v_mov_b32_e32 v3, v10
	v_mov_b32_e32 v4, v11
                                        ; implicit-def: $vgpr0
                                        ; implicit-def: $vgpr1_vgpr2
; %bb.11:
	s_or_saveexec_b64 s[4:5], s[4:5]
	s_load_dwordx2 s[2:3], s[2:3], 0x0
	s_xor_b64 exec, exec, s[4:5]
	s_cbranch_execz .LBB0_15
; %bb.12:
	s_add_u32 s6, s16, s6
	s_addc_u32 s7, s17, s7
	s_load_dwordx2 s[6:7], s[6:7], 0x0
	s_mov_b32 s14, 0x2aaaaab
	v_mul_hi_u32 v5, v0, s14
	v_lshlrev_b64 v[1:2], 2, v[1:2]
	s_waitcnt lgkmcnt(0)
	v_mul_lo_u32 v6, s7, v12
	v_mul_lo_u32 v7, s6, v13
	v_mad_u64_u32 v[3:4], s[6:7], s6, v12, 0
	v_mul_u32_u24_e32 v5, 0x60, v5
	v_sub_u32_e32 v10, v0, v5
	v_add3_u32 v4, v4, v7, v6
	v_lshlrev_b64 v[3:4], 2, v[3:4]
	v_mov_b32_e32 v0, s9
	v_add_co_u32_e32 v3, vcc, s8, v3
	v_addc_co_u32_e32 v0, vcc, v0, v4, vcc
	v_add_co_u32_e32 v1, vcc, v3, v1
	v_addc_co_u32_e32 v0, vcc, v0, v2, vcc
	v_lshlrev_b32_e32 v11, 2, v10
	v_add_co_u32_e32 v2, vcc, v1, v11
	v_addc_co_u32_e32 v3, vcc, 0, v0, vcc
	v_or_b32_e32 v4, 0x1200, v11
	v_add_co_u32_e32 v4, vcc, v1, v4
	s_movk_i32 s6, 0x1000
	v_addc_co_u32_e32 v5, vcc, 0, v0, vcc
	v_add_co_u32_e32 v6, vcc, s6, v2
	global_load_dword v18, v[2:3], off offset:1152
	global_load_dword v19, v[2:3], off offset:1536
	;; [unrolled: 1-line block ×5, first 2 shown]
	global_load_dword v23, v[2:3], off
	global_load_dword v24, v[2:3], off offset:768
	global_load_dword v25, v[2:3], off offset:384
	v_or_b32_e32 v14, 0x1800, v11
	v_addc_co_u32_e32 v7, vcc, 0, v3, vcc
	v_add_co_u32_e32 v14, vcc, v1, v14
	v_or_b32_e32 v16, 0x1e00, v11
	v_addc_co_u32_e32 v15, vcc, 0, v0, vcc
	v_add_co_u32_e32 v16, vcc, v1, v16
	s_movk_i32 s7, 0x2000
	global_load_dword v28, v[2:3], off offset:3072
	global_load_dword v29, v[2:3], off offset:3456
	;; [unrolled: 1-line block ×8, first 2 shown]
	v_addc_co_u32_e32 v17, vcc, 0, v0, vcc
	v_add_co_u32_e32 v2, vcc, s7, v2
	v_addc_co_u32_e32 v3, vcc, 0, v3, vcc
	global_load_dword v36, v[6:7], off offset:2816
	global_load_dword v37, v[6:7], off offset:3200
	global_load_dword v38, v[4:5], off
	global_load_dword v39, v[14:15], off
	;; [unrolled: 1-line block ×3, first 2 shown]
	global_load_dword v41, v[2:3], off offset:256
	global_load_dword v42, v[2:3], off offset:640
	;; [unrolled: 1-line block ×3, first 2 shown]
	v_or_b32_e32 v26, 0x2400, v11
	v_add_co_u32_e32 v4, vcc, v1, v26
	v_or_b32_e32 v27, 0x2a00, v11
	v_addc_co_u32_e32 v5, vcc, 0, v0, vcc
	v_add_co_u32_e32 v6, vcc, v1, v27
	v_addc_co_u32_e32 v7, vcc, 0, v0, vcc
	global_load_dword v14, v[4:5], off
	global_load_dword v15, v[2:3], off offset:1408
	global_load_dword v16, v[2:3], off offset:1792
	;; [unrolled: 1-line block ×3, first 2 shown]
	global_load_dword v26, v[6:7], off
	global_load_dword v27, v[2:3], off offset:2944
	v_add_u32_e32 v2, 0, v11
	v_add_u32_e32 v3, 0x200, v2
	;; [unrolled: 1-line block ×5, first 2 shown]
	v_mov_b32_e32 v11, 0
	s_movk_i32 s6, 0x5f
	v_cmp_eq_u32_e32 vcc, s6, v10
	s_waitcnt vmcnt(23)
	ds_write2_b32 v3, v24, v18 offset0:64 offset1:160
	ds_write2_b32 v4, v19, v20 offset0:128 offset1:224
	;; [unrolled: 1-line block ×3, first 2 shown]
	s_waitcnt vmcnt(20)
	ds_write2_b32 v6, v28, v29 offset1:96
	ds_write2_b32 v2, v23, v25 offset1:96
	v_add_u32_e32 v3, 0xe00, v2
	s_waitcnt vmcnt(18)
	ds_write2_b32 v3, v30, v31 offset0:64 offset1:160
	v_add_u32_e32 v3, 0x1000, v2
	s_waitcnt vmcnt(11)
	ds_write2_b32 v3, v38, v32 offset0:128 offset1:224
	v_add_u32_e32 v3, 0x1400, v2
	ds_write2_b32 v3, v33, v34 offset0:64 offset1:160
	v_add_u32_e32 v3, 0x1800, v2
	s_waitcnt vmcnt(10)
	ds_write2_b32 v3, v39, v35 offset1:96
	v_add_u32_e32 v3, 0x1a00, v2
	ds_write2_b32 v3, v36, v37 offset0:64 offset1:160
	v_add_u32_e32 v3, 0x1c00, v2
	s_waitcnt vmcnt(6)
	ds_write2_b32 v3, v40, v43 offset0:128 offset1:224
	v_add_u32_e32 v3, 0x2000, v2
	ds_write2_b32 v3, v41, v42 offset0:64 offset1:160
	v_add_u32_e32 v3, 0x2400, v2
	s_waitcnt vmcnt(4)
	ds_write2_b32 v3, v14, v15 offset1:96
	v_add_u32_e32 v3, 0x2600, v2
	s_waitcnt vmcnt(2)
	ds_write2_b32 v3, v16, v17 offset0:64 offset1:160
	v_mov_b32_e32 v3, v10
	v_add_u32_e32 v2, 0x2800, v2
	v_mov_b32_e32 v4, v11
	s_waitcnt vmcnt(0)
	ds_write2_b32 v2, v26, v27 offset0:128 offset1:224
	s_and_saveexec_b64 s[6:7], vcc
	s_cbranch_execz .LBB0_14
; %bb.13:
	v_add_co_u32_e32 v1, vcc, 0x2000, v1
	v_addc_co_u32_e32 v2, vcc, 0, v0, vcc
	global_load_dword v0, v[1:2], off offset:3328
	v_mov_b32_e32 v3, 0x5f
	v_mov_b32_e32 v4, 0
	;; [unrolled: 1-line block ×3, first 2 shown]
	s_waitcnt vmcnt(0)
	ds_write_b32 v11, v0 offset:11520
.LBB0_14:
	s_or_b64 exec, exec, s[6:7]
.LBB0_15:
	s_or_b64 exec, exec, s[4:5]
	v_lshlrev_b32_e32 v0, 2, v10
	v_add_u32_e32 v23, 0, v0
	s_waitcnt lgkmcnt(0)
	s_barrier
	v_sub_u32_e32 v0, 0, v0
	ds_read_u16 v5, v23
	ds_read_u16 v6, v0 offset:11520
	s_add_u32 s6, s12, 0x2cd8
	v_lshlrev_b64 v[16:17], 2, v[3:4]
	s_addc_u32 s7, s13, 0
	v_cmp_ne_u32_e32 vcc, 0, v10
	s_waitcnt lgkmcnt(0)
	v_add_f16_e32 v1, v6, v5
	v_sub_f16_e32 v2, v5, v6
	s_and_saveexec_b64 s[4:5], vcc
	s_xor_b64 s[4:5], exec, s[4:5]
	s_cbranch_execz .LBB0_17
; %bb.16:
	v_mov_b32_e32 v2, s7
	v_add_co_u32_e32 v1, vcc, s6, v16
	v_addc_co_u32_e32 v2, vcc, v2, v17, vcc
	global_load_dword v3, v[1:2], off
	ds_read_u16 v1, v0 offset:11522
	ds_read_u16 v2, v23 offset:2
	v_add_f16_e32 v4, v6, v5
	v_sub_f16_e32 v5, v5, v6
	s_waitcnt lgkmcnt(0)
	v_add_f16_e32 v6, v1, v2
	v_sub_f16_e32 v1, v2, v1
	s_waitcnt vmcnt(0)
	v_lshrrev_b32_e32 v2, 16, v3
	v_fma_f16 v7, v5, v2, v4
	v_fma_f16 v11, v6, v2, v1
	v_fma_f16 v4, -v5, v2, v4
	v_fma_f16 v14, v6, v2, -v1
	v_fma_f16 v1, -v3, v6, v7
	v_fma_f16 v2, v5, v3, v11
	v_fma_f16 v4, v3, v6, v4
	;; [unrolled: 1-line block ×3, first 2 shown]
	v_pack_b32_f16 v3, v4, v3
	ds_write_b32 v0, v3 offset:11520
.LBB0_17:
	s_andn2_saveexec_b64 s[4:5], s[4:5]
	s_cbranch_execz .LBB0_19
; %bb.18:
	v_mov_b32_e32 v3, 0
	ds_read_b32 v4, v3 offset:5760
	s_mov_b32 s8, 0xc0004000
	s_waitcnt lgkmcnt(0)
	v_pk_mul_f16 v4, v4, s8
	ds_write_b32 v3, v4 offset:5760
.LBB0_19:
	s_or_b64 exec, exec, s[4:5]
	v_mov_b32_e32 v11, 0
	v_lshlrev_b64 v[18:19], 2, v[10:11]
	v_mov_b32_e32 v4, s7
	v_add_co_u32_e32 v3, vcc, s6, v18
	v_addc_co_u32_e32 v4, vcc, v4, v19, vcc
	global_load_dword v5, v[3:4], off offset:384
	global_load_dword v6, v[3:4], off offset:768
	;; [unrolled: 1-line block ×4, first 2 shown]
	s_mov_b32 s4, 0x5040100
	v_perm_b32 v1, v2, v1, s4
	ds_write_b32 v23, v1
	ds_read_b32 v1, v23 offset:384
	ds_read_b32 v2, v0 offset:11136
	global_load_dword v15, v[3:4], off offset:1920
	global_load_dword v20, v[3:4], off offset:2304
	global_load_dword v21, v[3:4], off offset:2688
	global_load_dword v22, v[3:4], off offset:3072
	s_movk_i32 s4, 0x1000
	v_add_u32_e32 v30, 0x2000, v23
	v_add_u32_e32 v31, 0x1800, v23
	s_waitcnt lgkmcnt(0)
	v_add_f16_e32 v24, v1, v2
	v_add_f16_sdwa v25, v2, v1 dst_sel:DWORD dst_unused:UNUSED_PAD src0_sel:WORD_1 src1_sel:WORD_1
	v_sub_f16_e32 v26, v1, v2
	v_sub_f16_sdwa v1, v1, v2 dst_sel:DWORD dst_unused:UNUSED_PAD src0_sel:WORD_1 src1_sel:WORD_1
	v_add_u32_e32 v29, 0x2800, v23
	v_add_u32_e32 v32, 0x400, v23
	s_mov_b32 s5, 0xbb9c
	s_movk_i32 s9, 0x3b9c
	s_movk_i32 s8, 0x38b4
	;; [unrolled: 1-line block ×3, first 2 shown]
	v_add_u32_e32 v37, 0x200, v23
	v_add_u32_e32 v36, 0x1c00, v23
	s_mov_b32 s15, 0xb4f2
	s_mov_b32 s16, 0xba79
	s_waitcnt vmcnt(7)
	v_lshrrev_b32_e32 v2, 16, v5
	v_fma_f16 v27, v26, v2, v24
	v_fma_f16 v28, v25, v2, v1
	v_fma_f16 v24, -v26, v2, v24
	v_fma_f16 v1, v25, v2, -v1
	v_fma_f16 v2, -v5, v25, v27
	v_fma_f16 v27, v26, v5, v28
	v_fma_f16 v24, v5, v25, v24
	v_fma_f16 v1, v26, v5, v1
	v_pack_b32_f16 v2, v2, v27
	v_pack_b32_f16 v1, v24, v1
	ds_write_b32 v23, v2 offset:384
	ds_write_b32 v0, v1 offset:11136
	ds_read_b32 v1, v23 offset:768
	ds_read_b32 v2, v0 offset:10752
	s_waitcnt vmcnt(6)
	v_lshrrev_b32_e32 v5, 16, v6
	v_add_u32_e32 v28, 0xe00, v23
	s_waitcnt lgkmcnt(0)
	v_add_f16_e32 v24, v1, v2
	v_add_f16_sdwa v25, v2, v1 dst_sel:DWORD dst_unused:UNUSED_PAD src0_sel:WORD_1 src1_sel:WORD_1
	v_sub_f16_e32 v26, v1, v2
	v_sub_f16_sdwa v1, v1, v2 dst_sel:DWORD dst_unused:UNUSED_PAD src0_sel:WORD_1 src1_sel:WORD_1
	v_fma_f16 v2, v26, v5, v24
	v_fma_f16 v27, v25, v5, v1
	v_fma_f16 v24, -v26, v5, v24
	v_fma_f16 v1, v25, v5, -v1
	v_fma_f16 v2, -v6, v25, v2
	v_fma_f16 v5, v26, v6, v27
	v_fma_f16 v24, v6, v25, v24
	v_fma_f16 v1, v26, v6, v1
	v_pack_b32_f16 v2, v2, v5
	v_pack_b32_f16 v1, v24, v1
	ds_write_b32 v23, v2 offset:768
	ds_write_b32 v0, v1 offset:10752
	ds_read_b32 v1, v23 offset:1152
	ds_read_b32 v2, v0 offset:10368
	s_waitcnt vmcnt(5)
	v_lshrrev_b32_e32 v5, 16, v7
	s_waitcnt lgkmcnt(0)
	v_add_f16_e32 v6, v1, v2
	v_add_f16_sdwa v24, v2, v1 dst_sel:DWORD dst_unused:UNUSED_PAD src0_sel:WORD_1 src1_sel:WORD_1
	v_sub_f16_e32 v25, v1, v2
	v_sub_f16_sdwa v1, v1, v2 dst_sel:DWORD dst_unused:UNUSED_PAD src0_sel:WORD_1 src1_sel:WORD_1
	v_fma_f16 v2, v25, v5, v6
	v_fma_f16 v26, v24, v5, v1
	v_fma_f16 v6, -v25, v5, v6
	v_fma_f16 v1, v24, v5, -v1
	v_fma_f16 v2, -v7, v24, v2
	v_fma_f16 v5, v25, v7, v26
	v_fma_f16 v6, v7, v24, v6
	v_fma_f16 v1, v25, v7, v1
	v_pack_b32_f16 v2, v2, v5
	v_pack_b32_f16 v1, v6, v1
	ds_write_b32 v23, v2 offset:1152
	ds_write_b32 v0, v1 offset:10368
	ds_read_b32 v1, v23 offset:1536
	ds_read_b32 v2, v0 offset:9984
	s_waitcnt vmcnt(4)
	v_lshrrev_b32_e32 v5, 16, v14
	;; [unrolled: 21-line block ×3, first 2 shown]
	s_waitcnt lgkmcnt(0)
	v_add_f16_e32 v6, v1, v2
	v_add_f16_sdwa v7, v2, v1 dst_sel:DWORD dst_unused:UNUSED_PAD src0_sel:WORD_1 src1_sel:WORD_1
	v_sub_f16_e32 v14, v1, v2
	v_sub_f16_sdwa v1, v1, v2 dst_sel:DWORD dst_unused:UNUSED_PAD src0_sel:WORD_1 src1_sel:WORD_1
	v_fma_f16 v2, v14, v5, v6
	v_fma_f16 v24, v7, v5, v1
	v_fma_f16 v6, -v14, v5, v6
	v_fma_f16 v1, v7, v5, -v1
	v_fma_f16 v2, -v15, v7, v2
	v_fma_f16 v5, v14, v15, v24
	v_fma_f16 v6, v15, v7, v6
	;; [unrolled: 1-line block ×3, first 2 shown]
	v_pack_b32_f16 v2, v2, v5
	v_pack_b32_f16 v1, v6, v1
	ds_write_b32 v23, v2 offset:1920
	ds_write_b32 v0, v1 offset:9600
	ds_read_b32 v1, v23 offset:2304
	ds_read_b32 v2, v0 offset:9216
	global_load_dword v5, v[3:4], off offset:3456
	s_waitcnt vmcnt(3)
	v_lshrrev_b32_e32 v6, 16, v20
	s_waitcnt lgkmcnt(0)
	v_add_f16_e32 v7, v1, v2
	v_add_f16_sdwa v14, v2, v1 dst_sel:DWORD dst_unused:UNUSED_PAD src0_sel:WORD_1 src1_sel:WORD_1
	v_sub_f16_e32 v15, v1, v2
	v_sub_f16_sdwa v1, v1, v2 dst_sel:DWORD dst_unused:UNUSED_PAD src0_sel:WORD_1 src1_sel:WORD_1
	v_fma_f16 v2, v15, v6, v7
	v_fma_f16 v24, v14, v6, v1
	v_fma_f16 v7, -v15, v6, v7
	v_fma_f16 v1, v14, v6, -v1
	v_fma_f16 v2, -v20, v14, v2
	v_fma_f16 v6, v15, v20, v24
	v_fma_f16 v7, v20, v14, v7
	;; [unrolled: 1-line block ×3, first 2 shown]
	v_pack_b32_f16 v2, v2, v6
	v_pack_b32_f16 v1, v7, v1
	ds_write_b32 v23, v2 offset:2304
	ds_write_b32 v0, v1 offset:9216
	ds_read_b32 v1, v23 offset:2688
	ds_read_b32 v2, v0 offset:8832
	s_waitcnt vmcnt(2)
	v_lshrrev_b32_e32 v7, 16, v21
	global_load_dword v6, v[3:4], off offset:3840
	s_waitcnt lgkmcnt(0)
	v_add_f16_e32 v14, v1, v2
	v_add_f16_sdwa v15, v2, v1 dst_sel:DWORD dst_unused:UNUSED_PAD src0_sel:WORD_1 src1_sel:WORD_1
	v_sub_f16_e32 v20, v1, v2
	v_sub_f16_sdwa v1, v1, v2 dst_sel:DWORD dst_unused:UNUSED_PAD src0_sel:WORD_1 src1_sel:WORD_1
	v_fma_f16 v2, v20, v7, v14
	v_fma_f16 v24, v15, v7, v1
	v_fma_f16 v14, -v20, v7, v14
	v_fma_f16 v1, v15, v7, -v1
	v_fma_f16 v2, -v21, v15, v2
	v_fma_f16 v7, v20, v21, v24
	v_fma_f16 v14, v21, v15, v14
	;; [unrolled: 1-line block ×3, first 2 shown]
	v_pack_b32_f16 v2, v2, v7
	v_pack_b32_f16 v1, v14, v1
	ds_write_b32 v23, v2 offset:2688
	ds_write_b32 v0, v1 offset:8832
	ds_read_b32 v1, v23 offset:3072
	ds_read_b32 v2, v0 offset:8448
	s_waitcnt lgkmcnt(0)
	v_add_f16_e32 v7, v1, v2
	v_add_f16_sdwa v14, v2, v1 dst_sel:DWORD dst_unused:UNUSED_PAD src0_sel:WORD_1 src1_sel:WORD_1
	v_sub_f16_e32 v15, v1, v2
	v_sub_f16_sdwa v20, v1, v2 dst_sel:DWORD dst_unused:UNUSED_PAD src0_sel:WORD_1 src1_sel:WORD_1
	v_add_co_u32_e32 v1, vcc, s4, v3
	v_addc_co_u32_e32 v2, vcc, 0, v4, vcc
	global_load_dword v24, v[1:2], off offset:128
	s_waitcnt vmcnt(3)
	v_lshrrev_b32_e32 v3, 16, v22
	v_fma_f16 v4, v15, v3, v7
	v_fma_f16 v21, v14, v3, v20
	v_fma_f16 v4, -v22, v14, v4
	v_fma_f16 v21, v15, v22, v21
	v_pack_b32_f16 v4, v4, v21
	ds_write_b32 v23, v4 offset:3072
	v_fma_f16 v4, -v15, v3, v7
	v_fma_f16 v3, v14, v3, -v20
	v_or_b32_e32 v20, 0x480, v10
	v_mov_b32_e32 v21, v11
	v_fma_f16 v4, v22, v14, v4
	v_fma_f16 v3, v15, v22, v3
	v_lshlrev_b64 v[14:15], 2, v[20:21]
	v_pack_b32_f16 v3, v4, v3
	ds_write_b32 v0, v3 offset:8448
	v_mov_b32_e32 v4, s7
	v_add_co_u32_e32 v3, vcc, s6, v14
	v_addc_co_u32_e32 v4, vcc, v4, v15, vcc
	global_load_dword v3, v[3:4], off
	ds_read_b32 v4, v23 offset:3456
	ds_read_b32 v7, v0 offset:8064
	s_mov_b32 s6, 0xb8b4
	s_movk_i32 s7, 0x34f2
	v_cmp_gt_u32_e32 vcc, 60, v10
	s_waitcnt lgkmcnt(0)
	v_add_f16_e32 v21, v4, v7
	v_add_f16_sdwa v22, v7, v4 dst_sel:DWORD dst_unused:UNUSED_PAD src0_sel:WORD_1 src1_sel:WORD_1
	v_sub_f16_e32 v25, v4, v7
	v_sub_f16_sdwa v4, v4, v7 dst_sel:DWORD dst_unused:UNUSED_PAD src0_sel:WORD_1 src1_sel:WORD_1
	global_load_dword v7, v[1:2], off offset:896
	global_load_dword v26, v[1:2], off offset:1280
	s_waitcnt vmcnt(5)
	v_lshrrev_b32_e32 v1, 16, v5
	v_fma_f16 v2, v25, v1, v21
	v_fma_f16 v27, v22, v1, v4
	v_fma_f16 v2, -v5, v22, v2
	v_fma_f16 v27, v25, v5, v27
	v_pack_b32_f16 v2, v2, v27
	ds_write_b32 v23, v2 offset:3456
	v_fma_f16 v2, -v25, v1, v21
	v_fma_f16 v1, v22, v1, -v4
	v_fma_f16 v2, v5, v22, v2
	v_fma_f16 v1, v25, v5, v1
	v_pack_b32_f16 v1, v2, v1
	ds_write_b32 v0, v1 offset:8064
	ds_read_b32 v1, v23 offset:3840
	ds_read_b32 v2, v0 offset:7680
	v_add_u32_e32 v27, 0x1a00, v23
	s_waitcnt lgkmcnt(0)
	v_add_f16_e32 v4, v1, v2
	v_add_f16_sdwa v5, v2, v1 dst_sel:DWORD dst_unused:UNUSED_PAD src0_sel:WORD_1 src1_sel:WORD_1
	v_sub_f16_e32 v21, v1, v2
	v_sub_f16_sdwa v1, v1, v2 dst_sel:DWORD dst_unused:UNUSED_PAD src0_sel:WORD_1 src1_sel:WORD_1
	s_waitcnt vmcnt(4)
	v_lshrrev_b32_e32 v2, 16, v6
	v_fma_f16 v22, v21, v2, v4
	v_fma_f16 v25, v5, v2, v1
	v_fma_f16 v4, -v21, v2, v4
	v_fma_f16 v1, v5, v2, -v1
	v_fma_f16 v22, -v6, v5, v22
	v_fma_f16 v25, v21, v6, v25
	v_fma_f16 v4, v6, v5, v4
	v_fma_f16 v1, v21, v6, v1
	v_pack_b32_f16 v22, v22, v25
	v_pack_b32_f16 v1, v4, v1
	ds_write_b32 v23, v22 offset:3840
	ds_write_b32 v0, v1 offset:7680
	ds_read_b32 v1, v23 offset:4224
	ds_read_b32 v2, v0 offset:7296
	v_add_u32_e32 v25, 0x2400, v23
	s_waitcnt lgkmcnt(0)
	v_add_f16_e32 v4, v1, v2
	v_add_f16_sdwa v5, v2, v1 dst_sel:DWORD dst_unused:UNUSED_PAD src0_sel:WORD_1 src1_sel:WORD_1
	v_sub_f16_e32 v6, v1, v2
	v_sub_f16_sdwa v1, v1, v2 dst_sel:DWORD dst_unused:UNUSED_PAD src0_sel:WORD_1 src1_sel:WORD_1
	s_waitcnt vmcnt(3)
	v_lshrrev_b32_e32 v2, 16, v24
	v_fma_f16 v21, v6, v2, v4
	v_fma_f16 v22, v5, v2, v1
	v_fma_f16 v4, -v6, v2, v4
	v_fma_f16 v1, v5, v2, -v1
	v_fma_f16 v21, -v24, v5, v21
	v_fma_f16 v22, v6, v24, v22
	v_fma_f16 v4, v24, v5, v4
	v_fma_f16 v1, v6, v24, v1
	v_pack_b32_f16 v21, v21, v22
	v_pack_b32_f16 v1, v4, v1
	ds_write_b32 v23, v21 offset:4224
	;; [unrolled: 22-line block ×3, first 2 shown]
	ds_write_b32 v0, v1 offset:6912
	ds_read_b32 v1, v23 offset:4992
	ds_read_b32 v2, v0 offset:6528
	s_waitcnt lgkmcnt(0)
	v_add_f16_e32 v3, v1, v2
	v_add_f16_sdwa v4, v2, v1 dst_sel:DWORD dst_unused:UNUSED_PAD src0_sel:WORD_1 src1_sel:WORD_1
	v_sub_f16_e32 v5, v1, v2
	v_sub_f16_sdwa v1, v1, v2 dst_sel:DWORD dst_unused:UNUSED_PAD src0_sel:WORD_1 src1_sel:WORD_1
	s_waitcnt vmcnt(1)
	v_lshrrev_b32_e32 v2, 16, v7
	v_fma_f16 v6, v5, v2, v3
	v_fma_f16 v21, v4, v2, v1
	v_fma_f16 v3, -v5, v2, v3
	v_fma_f16 v1, v4, v2, -v1
	v_fma_f16 v6, -v7, v4, v6
	v_fma_f16 v21, v5, v7, v21
	v_fma_f16 v3, v7, v4, v3
	;; [unrolled: 1-line block ×3, first 2 shown]
	v_pack_b32_f16 v6, v6, v21
	v_pack_b32_f16 v1, v3, v1
	ds_write_b32 v23, v6 offset:4992
	ds_write_b32 v0, v1 offset:6528
	ds_read_b32 v1, v23 offset:5376
	ds_read_b32 v2, v0 offset:6144
	s_waitcnt lgkmcnt(0)
	v_add_f16_e32 v3, v1, v2
	v_add_f16_sdwa v4, v2, v1 dst_sel:DWORD dst_unused:UNUSED_PAD src0_sel:WORD_1 src1_sel:WORD_1
	v_sub_f16_e32 v5, v1, v2
	v_sub_f16_sdwa v1, v1, v2 dst_sel:DWORD dst_unused:UNUSED_PAD src0_sel:WORD_1 src1_sel:WORD_1
	s_waitcnt vmcnt(0)
	v_lshrrev_b32_e32 v2, 16, v26
	v_fma_f16 v6, v5, v2, v3
	v_fma_f16 v7, v4, v2, v1
	v_fma_f16 v3, -v5, v2, v3
	v_fma_f16 v1, v4, v2, -v1
	v_fma_f16 v6, -v26, v4, v6
	v_fma_f16 v7, v5, v26, v7
	v_fma_f16 v3, v26, v4, v3
	;; [unrolled: 1-line block ×3, first 2 shown]
	v_pack_b32_f16 v6, v6, v7
	v_pack_b32_f16 v1, v3, v1
	v_add_u32_e32 v26, 0x800, v23
	ds_write_b32 v23, v6 offset:5376
	ds_write_b32 v0, v1 offset:6144
	s_waitcnt lgkmcnt(0)
	s_barrier
	s_barrier
	ds_read2_b32 v[0:1], v26 offset0:64 offset1:160
	ds_read2_b32 v[2:3], v27 offset0:64 offset1:160
	ds_read2_b32 v[4:5], v25 offset1:96
	ds_read2_b32 v[6:7], v24 offset0:128 offset1:224
	ds_read2_b32 v[38:39], v30 offset0:64 offset1:160
	;; [unrolled: 1-line block ×4, first 2 shown]
	ds_read2_b32 v[44:45], v31 offset1:96
	ds_read2_b32 v[46:47], v32 offset0:128 offset1:224
	s_waitcnt lgkmcnt(6)
	v_sub_f16_e32 v21, v5, v3
	s_waitcnt lgkmcnt(5)
	v_sub_f16_e32 v22, v1, v7
	v_add_f16_e32 v58, v22, v21
	v_sub_f16_sdwa v21, v1, v7 dst_sel:DWORD dst_unused:UNUSED_PAD src0_sel:WORD_1 src1_sel:WORD_1
	v_sub_f16_sdwa v22, v5, v3 dst_sel:DWORD dst_unused:UNUSED_PAD src0_sel:WORD_1 src1_sel:WORD_1
	v_add_f16_e32 v59, v21, v22
	s_waitcnt lgkmcnt(3)
	v_sub_f16_e32 v21, v40, v38
	s_waitcnt lgkmcnt(1)
	v_sub_f16_e32 v22, v42, v44
	v_add_f16_e32 v60, v22, v21
	v_sub_f16_sdwa v21, v42, v44 dst_sel:DWORD dst_unused:UNUSED_PAD src0_sel:WORD_1 src1_sel:WORD_1
	v_sub_f16_sdwa v22, v40, v38 dst_sel:DWORD dst_unused:UNUSED_PAD src0_sel:WORD_1 src1_sel:WORD_1
	v_add_f16_e32 v61, v21, v22
	v_add_f16_e32 v21, v44, v38
	s_waitcnt lgkmcnt(0)
	v_fma_f16 v62, v21, -0.5, v46
	v_sub_f16_sdwa v63, v42, v40 dst_sel:DWORD dst_unused:UNUSED_PAD src0_sel:WORD_1 src1_sel:WORD_1
	v_fma_f16 v21, v63, s5, v62
	v_sub_f16_sdwa v64, v44, v38 dst_sel:DWORD dst_unused:UNUSED_PAD src0_sel:WORD_1 src1_sel:WORD_1
	v_fma_f16 v21, v64, s6, v21
	v_fma_f16 v33, v60, s7, v21
	v_add_f16_sdwa v21, v44, v38 dst_sel:DWORD dst_unused:UNUSED_PAD src0_sel:WORD_1 src1_sel:WORD_1
	v_lshrrev_b32_e32 v65, 16, v46
	v_fma_f16 v66, v21, -0.5, v65
	v_sub_f16_e32 v67, v42, v40
	v_fma_f16 v21, v67, s9, v66
	v_sub_f16_e32 v68, v44, v38
	v_fma_f16 v21, v68, s8, v21
	v_fma_f16 v34, v61, s7, v21
	ds_read2_b32 v[21:22], v23 offset1:96
	v_mul_f16_e32 v35, 0xb8b4, v34
	v_fma_f16 v69, v33, s14, v35
	v_mul_f16_e32 v33, 0x38b4, v33
	v_fma_f16 v70, v34, s14, v33
	v_add_f16_e32 v33, v7, v3
	s_waitcnt lgkmcnt(0)
	v_fma_f16 v71, v33, -0.5, v22
	v_sub_f16_sdwa v72, v1, v5 dst_sel:DWORD dst_unused:UNUSED_PAD src0_sel:WORD_1 src1_sel:WORD_1
	v_fma_f16 v33, v72, s5, v71
	v_sub_f16_sdwa v73, v7, v3 dst_sel:DWORD dst_unused:UNUSED_PAD src0_sel:WORD_1 src1_sel:WORD_1
	v_fma_f16 v33, v73, s6, v33
	v_fma_f16 v74, v58, s7, v33
	v_add_f16_sdwa v33, v7, v3 dst_sel:DWORD dst_unused:UNUSED_PAD src0_sel:WORD_1 src1_sel:WORD_1
	v_lshrrev_b32_e32 v75, 16, v22
	v_fma_f16 v76, v33, -0.5, v75
	v_sub_f16_e32 v77, v1, v5
	v_fma_f16 v33, v77, s9, v76
	v_sub_f16_e32 v78, v7, v3
	v_fma_f16 v33, v78, s8, v33
	v_fma_f16 v79, v59, s7, v33
	v_add_f16_e32 v33, v74, v69
	v_add_f16_e32 v34, v79, v70
	v_pack_b32_f16 v80, v33, v34
	v_mul_u32_u24_e32 v33, 10, v10
	v_lshl_add_u32 v81, v33, 2, 0
	v_pk_add_f16 v33, v22, v1
	v_pk_add_f16 v33, v33, v7
	;; [unrolled: 1-line block ×8, first 2 shown]
	v_add_u32_e32 v84, 0xf00, v81
	v_pk_add_f16 v85, v82, v83
	v_add_u32_e32 v35, 0xc00, v23
	v_add_u32_e32 v33, 0x1400, v23
	;; [unrolled: 1-line block ×3, first 2 shown]
	ds_read2_b32 v[48:49], v37 offset0:64 offset1:160
	ds_read2_b32 v[50:51], v35 offset1:96
	ds_read2_b32 v[52:53], v33 offset0:64 offset1:160
	ds_read2_b32 v[54:55], v36 offset0:128 offset1:224
	;; [unrolled: 1-line block ×3, first 2 shown]
	s_waitcnt lgkmcnt(0)
	s_barrier
	ds_write2_b32 v84, v85, v80 offset1:1
	v_sub_f16_e32 v80, v3, v5
	v_sub_f16_e32 v84, v7, v1
	v_add_f16_e32 v80, v84, v80
	v_add_f16_e32 v84, v1, v5
	v_fma_f16 v22, v84, -0.5, v22
	v_fma_f16 v84, v73, s9, v22
	v_fma_f16 v22, v73, s5, v22
	;; [unrolled: 1-line block ×6, first 2 shown]
	v_add_f16_sdwa v80, v1, v5 dst_sel:DWORD dst_unused:UNUSED_PAD src0_sel:WORD_1 src1_sel:WORD_1
	v_fma_f16 v75, v80, -0.5, v75
	v_sub_f16_sdwa v1, v7, v1 dst_sel:DWORD dst_unused:UNUSED_PAD src0_sel:WORD_1 src1_sel:WORD_1
	v_sub_f16_sdwa v3, v3, v5 dst_sel:DWORD dst_unused:UNUSED_PAD src0_sel:WORD_1 src1_sel:WORD_1
	v_add_f16_e32 v1, v1, v3
	v_fma_f16 v3, v78, s5, v75
	v_fma_f16 v5, v78, s9, v75
	;; [unrolled: 1-line block ×6, first 2 shown]
	v_sub_f16_e32 v5, v38, v40
	v_sub_f16_e32 v7, v44, v42
	v_add_f16_e32 v5, v7, v5
	v_add_f16_e32 v7, v42, v40
	v_fma_f16 v7, v7, -0.5, v46
	v_fma_f16 v46, v64, s9, v7
	v_fma_f16 v7, v64, s5, v7
	;; [unrolled: 1-line block ×6, first 2 shown]
	v_add_f16_sdwa v7, v42, v40 dst_sel:DWORD dst_unused:UNUSED_PAD src0_sel:WORD_1 src1_sel:WORD_1
	v_fma_f16 v7, v7, -0.5, v65
	v_sub_f16_sdwa v42, v44, v42 dst_sel:DWORD dst_unused:UNUSED_PAD src0_sel:WORD_1 src1_sel:WORD_1
	v_sub_f16_sdwa v38, v38, v40 dst_sel:DWORD dst_unused:UNUSED_PAD src0_sel:WORD_1 src1_sel:WORD_1
	v_fma_f16 v40, v68, s5, v7
	v_fma_f16 v7, v68, s9, v7
	v_add_f16_e32 v38, v42, v38
	v_fma_f16 v7, v67, s6, v7
	v_fma_f16 v40, v67, s8, v40
	;; [unrolled: 1-line block ×4, first 2 shown]
	v_mul_f16_e32 v42, 0xbb9c, v7
	v_mul_f16_e32 v7, 0xb4f2, v7
	;; [unrolled: 1-line block ×4, first 2 shown]
	v_fma_f16 v42, v5, s15, v42
	v_fma_f16 v5, v5, s9, v7
	;; [unrolled: 1-line block ×4, first 2 shown]
	v_add_f16_e32 v7, v22, v42
	v_add_f16_e32 v44, v1, v5
	v_pack_b32_f16 v7, v7, v44
	v_add_f16_e32 v44, v84, v38
	v_add_f16_e32 v46, v3, v40
	v_pack_b32_f16 v44, v44, v46
	v_add_u32_e32 v46, 0xf08, v81
	ds_write2_b32 v46, v44, v7 offset1:1
	v_fma_f16 v7, v72, s9, v71
	v_fma_f16 v7, v73, s8, v7
	;; [unrolled: 1-line block ×12, first 2 shown]
	v_mul_f16_e32 v59, 0xb8b4, v58
	v_mul_f16_e32 v58, 0xba79, v58
	v_fma_f16 v59, v46, s16, v59
	v_fma_f16 v46, v46, s8, v58
	v_add_f16_e32 v60, v7, v59
	v_add_f16_e32 v61, v44, v46
	v_pk_add_f16 v58, v82, v83 neg_lo:[0,1] neg_hi:[0,1]
	v_pack_b32_f16 v60, v60, v61
	v_add_u32_e32 v61, 0xf10, v81
	ds_write2_b32 v61, v60, v58 offset1:1
	v_sub_f16_e32 v58, v74, v69
	v_sub_f16_e32 v38, v84, v38
	;; [unrolled: 1-line block ×4, first 2 shown]
	v_pack_b32_f16 v3, v38, v3
	v_pack_b32_f16 v38, v58, v60
	v_add_u32_e32 v40, 0xf18, v81
	ds_write2_b32 v40, v38, v3 offset1:1
	v_sub_f16_e32 v3, v22, v42
	v_sub_f16_e32 v7, v7, v59
	v_sub_f16_e32 v1, v1, v5
	v_sub_f16_e32 v5, v44, v46
	v_pack_b32_f16 v5, v7, v5
	v_pack_b32_f16 v1, v3, v1
	v_add_u32_e32 v3, 0xf20, v81
	ds_write2_b32 v3, v1, v5 offset1:1
	v_pk_add_f16 v1, v47, v43
	v_pk_add_f16 v1, v1, v45
	v_sub_f16_sdwa v42, v43, v45 dst_sel:DWORD dst_unused:UNUSED_PAD src0_sel:WORD_1 src1_sel:WORD_1
	v_pk_add_f16 v1, v1, v39
	v_sub_f16_sdwa v61, v41, v39 dst_sel:DWORD dst_unused:UNUSED_PAD src0_sel:WORD_1 src1_sel:WORD_1
	v_add_f16_e32 v3, v45, v39
	v_sub_f16_sdwa v5, v45, v39 dst_sel:DWORD dst_unused:UNUSED_PAD src0_sel:WORD_1 src1_sel:WORD_1
	v_sub_f16_e32 v7, v43, v45
	v_sub_f16_e32 v22, v45, v43
	v_add_f16_sdwa v38, v45, v39 dst_sel:DWORD dst_unused:UNUSED_PAD src0_sel:WORD_1 src1_sel:WORD_1
	v_sub_f16_e32 v40, v45, v39
	v_sub_f16_sdwa v44, v45, v43 dst_sel:DWORD dst_unused:UNUSED_PAD src0_sel:WORD_1 src1_sel:WORD_1
	v_sub_f16_sdwa v45, v43, v41 dst_sel:DWORD dst_unused:UNUSED_PAD src0_sel:WORD_1 src1_sel:WORD_1
	v_add_f16_e32 v46, v43, v41
	v_sub_f16_e32 v58, v43, v41
	v_add_f16_sdwa v43, v43, v41 dst_sel:DWORD dst_unused:UNUSED_PAD src0_sel:WORD_1 src1_sel:WORD_1
	v_sub_f16_e32 v59, v41, v39
	v_sub_f16_e32 v60, v39, v41
	v_sub_f16_sdwa v39, v39, v41 dst_sel:DWORD dst_unused:UNUSED_PAD src0_sel:WORD_1 src1_sel:WORD_1
	v_pk_add_f16 v1, v1, v41
	v_sub_f16_e32 v41, v56, v54
	v_sub_f16_e32 v62, v50, v52
	v_add_f16_e32 v42, v42, v61
	v_lshrrev_b32_e32 v61, 16, v47
	v_add_f16_e32 v41, v62, v41
	v_sub_f16_sdwa v62, v50, v52 dst_sel:DWORD dst_unused:UNUSED_PAD src0_sel:WORD_1 src1_sel:WORD_1
	v_sub_f16_sdwa v63, v56, v54 dst_sel:DWORD dst_unused:UNUSED_PAD src0_sel:WORD_1 src1_sel:WORD_1
	v_fma_f16 v38, v38, -0.5, v61
	v_add_f16_e32 v62, v62, v63
	v_fma_f16 v3, v3, -0.5, v47
	v_fma_f16 v63, v58, s9, v38
	v_add_f16_e32 v7, v7, v59
	v_fma_f16 v59, v45, s5, v3
	v_fma_f16 v63, v40, s8, v63
	v_fma_f16 v59, v5, s6, v59
	v_fma_f16 v63, v42, s7, v63
	v_fma_f16 v59, v7, s7, v59
	v_mul_f16_e32 v64, 0xb8b4, v63
	v_fma_f16 v64, v59, s14, v64
	v_mul_f16_e32 v59, 0x38b4, v59
	v_fma_f16 v59, v63, s14, v59
	v_add_f16_e32 v63, v52, v54
	v_add_f16_sdwa v68, v52, v54 dst_sel:DWORD dst_unused:UNUSED_PAD src0_sel:WORD_1 src1_sel:WORD_1
	v_lshrrev_b32_e32 v69, 16, v48
	v_fma_f16 v63, v63, -0.5, v48
	v_sub_f16_sdwa v65, v50, v56 dst_sel:DWORD dst_unused:UNUSED_PAD src0_sel:WORD_1 src1_sel:WORD_1
	v_fma_f16 v68, v68, -0.5, v69
	v_sub_f16_e32 v70, v50, v56
	v_fma_f16 v66, v65, s5, v63
	v_sub_f16_sdwa v67, v52, v54 dst_sel:DWORD dst_unused:UNUSED_PAD src0_sel:WORD_1 src1_sel:WORD_1
	v_fma_f16 v71, v70, s9, v68
	v_sub_f16_e32 v72, v52, v54
	v_fma_f16 v66, v67, s6, v66
	v_fma_f16 v71, v72, s8, v71
	;; [unrolled: 1-line block ×4, first 2 shown]
	v_add_f16_e32 v73, v66, v64
	v_add_f16_e32 v74, v71, v59
	v_pack_b32_f16 v73, v73, v74
	v_pk_add_f16 v74, v48, v50
	v_pk_add_f16 v74, v74, v52
	v_pk_add_f16 v74, v74, v54
	v_pk_add_f16 v74, v74, v56
	v_add_u32_e32 v75, 0x1e00, v81
	v_pk_add_f16 v76, v74, v1
	ds_write2_b32 v75, v76, v73 offset1:1
	v_fma_f16 v46, v46, -0.5, v47
	v_sub_f16_e32 v47, v54, v56
	v_sub_f16_e32 v73, v52, v50
	v_add_f16_e32 v47, v73, v47
	v_add_f16_e32 v73, v50, v56
	v_fma_f16 v48, v73, -0.5, v48
	v_fma_f16 v73, v67, s9, v48
	v_fma_f16 v48, v67, s5, v48
	;; [unrolled: 1-line block ×6, first 2 shown]
	v_add_f16_sdwa v48, v50, v56 dst_sel:DWORD dst_unused:UNUSED_PAD src0_sel:WORD_1 src1_sel:WORD_1
	v_fma_f16 v48, v48, -0.5, v69
	v_sub_f16_sdwa v50, v52, v50 dst_sel:DWORD dst_unused:UNUSED_PAD src0_sel:WORD_1 src1_sel:WORD_1
	v_sub_f16_sdwa v52, v54, v56 dst_sel:DWORD dst_unused:UNUSED_PAD src0_sel:WORD_1 src1_sel:WORD_1
	v_add_f16_e32 v50, v50, v52
	v_fma_f16 v52, v72, s5, v48
	v_fma_f16 v48, v72, s9, v48
	v_fma_f16 v43, v43, -0.5, v61
	v_fma_f16 v52, v70, s8, v52
	v_fma_f16 v48, v70, s6, v48
	v_add_f16_e32 v39, v44, v39
	v_fma_f16 v44, v40, s5, v43
	v_fma_f16 v43, v40, s9, v43
	;; [unrolled: 1-line block ×8, first 2 shown]
	v_add_f16_e32 v22, v22, v60
	v_fma_f16 v50, v45, s6, v50
	v_fma_f16 v46, v45, s8, v46
	;; [unrolled: 1-line block ×6, first 2 shown]
	v_mul_f16_e32 v46, 0xbb9c, v39
	v_mul_f16_e32 v39, 0xb4f2, v39
	;; [unrolled: 1-line block ×4, first 2 shown]
	v_fma_f16 v46, v22, s15, v46
	v_fma_f16 v22, v22, s9, v39
	;; [unrolled: 1-line block ×4, first 2 shown]
	v_add_f16_e32 v39, v47, v46
	v_add_f16_e32 v50, v48, v22
	v_pack_b32_f16 v39, v39, v50
	v_add_f16_e32 v50, v73, v43
	v_add_f16_e32 v54, v52, v44
	v_pack_b32_f16 v50, v50, v54
	v_add_u32_e32 v54, 0x1e08, v81
	v_fma_f16 v3, v45, s9, v3
	ds_write2_b32 v54, v50, v39 offset1:1
	v_fma_f16 v39, v65, s9, v63
	v_fma_f16 v3, v5, s8, v3
	;; [unrolled: 1-line block ×10, first 2 shown]
	v_mul_f16_e32 v7, 0xb8b4, v5
	v_mul_f16_e32 v5, 0xba79, v5
	v_fma_f16 v41, v62, s7, v41
	v_fma_f16 v7, v3, s16, v7
	;; [unrolled: 1-line block ×3, first 2 shown]
	v_add_f16_e32 v5, v39, v7
	v_add_f16_e32 v38, v41, v3
	v_pk_add_f16 v1, v74, v1 neg_lo:[0,1] neg_hi:[0,1]
	v_pack_b32_f16 v5, v5, v38
	v_add_u32_e32 v38, 0x1e10, v81
	ds_write2_b32 v38, v5, v1 offset1:1
	v_sub_f16_e32 v1, v66, v64
	v_sub_f16_e32 v5, v73, v43
	;; [unrolled: 1-line block ×4, first 2 shown]
	v_pack_b32_f16 v5, v5, v40
	v_pack_b32_f16 v1, v1, v38
	v_add_u32_e32 v38, 0x1e18, v81
	ds_write2_b32 v38, v1, v5 offset1:1
	v_pk_add_f16 v1, v21, v0
	v_pk_add_f16 v1, v1, v6
	;; [unrolled: 1-line block ×3, first 2 shown]
	v_add_f16_e32 v5, v6, v2
	v_sub_f16_sdwa v38, v6, v2 dst_sel:DWORD dst_unused:UNUSED_PAD src0_sel:WORD_1 src1_sel:WORD_1
	v_sub_f16_e32 v40, v0, v6
	v_sub_f16_e32 v42, v6, v0
	v_add_f16_sdwa v43, v6, v2 dst_sel:DWORD dst_unused:UNUSED_PAD src0_sel:WORD_1 src1_sel:WORD_1
	v_sub_f16_e32 v44, v6, v2
	v_sub_f16_sdwa v45, v0, v6 dst_sel:DWORD dst_unused:UNUSED_PAD src0_sel:WORD_1 src1_sel:WORD_1
	v_sub_f16_sdwa v6, v6, v0 dst_sel:DWORD dst_unused:UNUSED_PAD src0_sel:WORD_1 src1_sel:WORD_1
	;; [unrolled: 1-line block ×3, first 2 shown]
	v_add_f16_e32 v52, v0, v4
	v_sub_f16_e32 v54, v0, v4
	v_add_f16_sdwa v0, v0, v4 dst_sel:DWORD dst_unused:UNUSED_PAD src0_sel:WORD_1 src1_sel:WORD_1
	v_sub_f16_e32 v56, v4, v2
	v_sub_f16_e32 v58, v2, v4
	v_sub_f16_sdwa v59, v4, v2 dst_sel:DWORD dst_unused:UNUSED_PAD src0_sel:WORD_1 src1_sel:WORD_1
	v_sub_f16_sdwa v2, v2, v4 dst_sel:DWORD dst_unused:UNUSED_PAD src0_sel:WORD_1 src1_sel:WORD_1
	v_pk_add_f16 v1, v1, v4
	v_pk_add_f16 v4, v49, v51
	;; [unrolled: 1-line block ×3, first 2 shown]
	v_add_f16_e32 v60, v53, v55
	v_add_f16_e32 v68, v51, v57
	v_pk_add_f16 v4, v4, v55
	v_sub_f16_sdwa v61, v53, v55 dst_sel:DWORD dst_unused:UNUSED_PAD src0_sel:WORD_1 src1_sel:WORD_1
	v_sub_f16_e32 v62, v51, v53
	v_sub_f16_e32 v63, v53, v51
	v_add_f16_sdwa v64, v53, v55 dst_sel:DWORD dst_unused:UNUSED_PAD src0_sel:WORD_1 src1_sel:WORD_1
	v_sub_f16_e32 v65, v53, v55
	v_sub_f16_sdwa v66, v51, v53 dst_sel:DWORD dst_unused:UNUSED_PAD src0_sel:WORD_1 src1_sel:WORD_1
	v_sub_f16_sdwa v53, v53, v51 dst_sel:DWORD dst_unused:UNUSED_PAD src0_sel:WORD_1 src1_sel:WORD_1
	;; [unrolled: 1-line block ×3, first 2 shown]
	v_sub_f16_e32 v69, v51, v57
	v_add_f16_sdwa v51, v51, v57 dst_sel:DWORD dst_unused:UNUSED_PAD src0_sel:WORD_1 src1_sel:WORD_1
	v_sub_f16_e32 v70, v57, v55
	v_sub_f16_e32 v71, v55, v57
	v_sub_f16_sdwa v72, v57, v55 dst_sel:DWORD dst_unused:UNUSED_PAD src0_sel:WORD_1 src1_sel:WORD_1
	v_sub_f16_sdwa v55, v55, v57 dst_sel:DWORD dst_unused:UNUSED_PAD src0_sel:WORD_1 src1_sel:WORD_1
	v_pk_add_f16 v4, v4, v57
	v_add_f16_e32 v45, v45, v59
	v_fma_f16 v57, v60, -0.5, v49
	v_fma_f16 v59, v68, -0.5, v49
	v_lshrrev_b32_e32 v49, 16, v49
	v_fma_f16 v64, v64, -0.5, v49
	v_add_f16_e32 v60, v66, v72
	v_fma_f16 v66, v69, s9, v64
	v_add_f16_e32 v40, v40, v56
	v_add_f16_e32 v56, v62, v70
	v_fma_f16 v62, v67, s5, v57
	v_fma_f16 v66, v65, s8, v66
	;; [unrolled: 1-line block ×4, first 2 shown]
	v_fma_f16 v5, v5, -0.5, v21
	v_fma_f16 v52, v52, -0.5, v21
	v_lshrrev_b32_e32 v21, 16, v21
	v_fma_f16 v62, v56, s7, v62
	v_mul_f16_e32 v68, 0xb8b4, v66
	v_fma_f16 v68, v62, s14, v68
	v_mul_f16_e32 v62, 0x38b4, v62
	v_add_f16_e32 v42, v42, v58
	v_fma_f16 v58, v38, s9, v52
	v_fma_f16 v52, v38, s5, v52
	v_fma_f16 v0, v0, -0.5, v21
	v_fma_f16 v62, v66, s14, v62
	v_fma_f16 v66, v50, s5, v5
	v_fma_f16 v43, v43, -0.5, v21
	v_fma_f16 v58, v50, s6, v58
	v_fma_f16 v52, v50, s8, v52
	v_add_f16_e32 v2, v6, v2
	v_fma_f16 v6, v44, s5, v0
	v_fma_f16 v0, v44, s9, v0
	;; [unrolled: 1-line block ×17, first 2 shown]
	v_add_f16_e32 v2, v63, v71
	v_fma_f16 v21, v67, s6, v21
	v_fma_f16 v52, v67, s8, v52
	v_fma_f16 v49, v51, -0.5, v49
	v_fma_f16 v5, v40, s7, v5
	v_fma_f16 v40, v67, s9, v57
	;; [unrolled: 1-line block ×10, first 2 shown]
	v_add_f16_e32 v51, v53, v55
	v_fma_f16 v52, v69, s8, v52
	v_fma_f16 v49, v65, s9, v49
	;; [unrolled: 1-line block ×4, first 2 shown]
	v_mul_f16_e32 v44, 0xb8b4, v43
	v_mul_f16_e32 v43, 0xba79, v43
	v_add_f16_e32 v72, v66, v68
	v_add_f16_e32 v73, v70, v62
	v_fma_f16 v52, v51, s7, v52
	v_fma_f16 v49, v69, s6, v49
	v_fma_f16 v38, v45, s7, v38
	v_fma_f16 v44, v40, s16, v44
	v_fma_f16 v40, v40, s8, v43
	v_pack_b32_f16 v72, v72, v73
	v_pk_add_f16 v73, v1, v4
	v_fma_f16 v49, v51, s7, v49
	v_mul_f16_e32 v51, 0xbb9c, v52
	v_mul_f16_e32 v52, 0x34f2, v52
	v_pk_add_f16 v1, v1, v4 neg_lo:[0,1] neg_hi:[0,1]
	v_add_f16_e32 v4, v5, v44
	v_add_f16_e32 v43, v38, v40
	v_fma_f16 v51, v21, s7, v51
	v_fma_f16 v21, v21, s9, v52
	v_pack_b32_f16 v4, v4, v43
	v_mul_f16_e32 v52, 0xbb9c, v49
	v_mul_f16_e32 v49, 0xb4f2, v49
	v_add_f16_e32 v55, v6, v21
	ds_write2_b32 v81, v4, v1 offset0:4 offset1:5
	v_sub_f16_e32 v1, v66, v68
	v_sub_f16_e32 v4, v58, v51
	;; [unrolled: 1-line block ×4, first 2 shown]
	v_fma_f16 v52, v2, s15, v52
	v_fma_f16 v2, v2, s9, v49
	v_pack_b32_f16 v4, v4, v6
	v_pack_b32_f16 v1, v1, v43
	v_add_f16_e32 v53, v0, v2
	ds_write2_b32 v81, v1, v4 offset0:6 offset1:7
	v_sub_f16_e32 v1, v42, v52
	v_sub_f16_e32 v4, v5, v44
	v_sub_f16_e32 v0, v0, v2
	v_sub_f16_e32 v2, v38, v40
	v_pack_b32_f16 v2, v4, v2
	v_pack_b32_f16 v0, v1, v0
	ds_write2_b32 v81, v0, v2 offset0:8 offset1:9
	v_sub_f16_e32 v0, v47, v46
	v_sub_f16_e32 v1, v39, v7
	;; [unrolled: 1-line block ×4, first 2 shown]
	v_pack_b32_f16 v1, v1, v3
	v_pack_b32_f16 v0, v0, v2
	v_add_u32_e32 v2, 0x1e20, v81
	s_movk_i32 s5, 0xcd
	ds_write2_b32 v2, v0, v1 offset1:1
	v_mul_lo_u16_sdwa v0, v10, s5 dst_sel:DWORD dst_unused:UNUSED_PAD src0_sel:BYTE_0 src1_sel:DWORD
	v_lshrrev_b16_e32 v40, 11, v0
	v_mul_lo_u16_e32 v0, 10, v40
	v_add_f16_e32 v49, v42, v52
	v_sub_u16_e32 v48, v10, v0
	v_mov_b32_e32 v41, 5
	v_pack_b32_f16 v49, v49, v53
	v_add_f16_e32 v53, v58, v51
	v_mul_u32_u24_sdwa v0, v48, v41 dst_sel:DWORD dst_unused:UNUSED_PAD src0_sel:BYTE_0 src1_sel:DWORD
	v_pack_b32_f16 v53, v53, v55
	v_lshlrev_b32_e32 v44, 2, v0
	ds_write2_b32 v81, v73, v72 offset1:1
	ds_write2_b32 v81, v53, v49 offset0:2 offset1:3
	s_waitcnt lgkmcnt(0)
	s_barrier
	global_load_dwordx4 v[54:57], v44, s[12:13]
	global_load_dword v70, v44, s[12:13] offset:16
	v_add_u16_e32 v42, 0x60, v10
	v_mul_lo_u16_sdwa v0, v42, s5 dst_sel:DWORD dst_unused:UNUSED_PAD src0_sel:BYTE_0 src1_sel:DWORD
	v_lshrrev_b16_e32 v46, 11, v0
	v_mul_lo_u16_e32 v0, 10, v46
	v_sub_u16_e32 v47, v42, v0
	v_mul_u32_u24_sdwa v0, v47, v41 dst_sel:DWORD dst_unused:UNUSED_PAD src0_sel:BYTE_0 src1_sel:DWORD
	v_lshlrev_b32_e32 v52, 2, v0
	global_load_dwordx4 v[0:3], v52, s[12:13]
	s_mov_b32 s5, 0xcccd
	v_add_u32_e32 v43, 0xc0, v10
	v_mul_u32_u24_sdwa v4, v43, s5 dst_sel:DWORD dst_unused:UNUSED_PAD src0_sel:WORD_0 src1_sel:DWORD
	v_lshrrev_b32_e32 v39, 19, v4
	v_mul_lo_u16_e32 v4, 10, v39
	v_sub_u16_e32 v45, v43, v4
	v_mul_u32_u24_e32 v4, 5, v45
	v_lshlrev_b32_e32 v53, 2, v4
	global_load_dwordx4 v[4:7], v53, s[12:13]
	v_add_u32_e32 v38, 0x120, v10
	v_mul_u32_u24_sdwa v49, v38, s5 dst_sel:DWORD dst_unused:UNUSED_PAD src0_sel:WORD_0 src1_sel:DWORD
	v_lshrrev_b32_e32 v49, 19, v49
	v_mul_lo_u16_e32 v50, 10, v49
	ds_read2_b32 v[21:22], v32 offset0:128 offset1:224
	v_sub_u16_e32 v50, v38, v50
	v_mul_u32_u24_e32 v58, 5, v50
	v_lshlrev_b32_e32 v69, 2, v58
	ds_read2_b32 v[65:66], v28 offset0:64 offset1:160
	global_load_dwordx4 v[58:61], v69, s[12:13]
	s_waitcnt lgkmcnt(1)
	v_lshrrev_b32_e32 v51, 16, v22
	global_load_dword v53, v53, s[12:13] offset:16
	ds_read2_b32 v[67:68], v33 offset0:64 offset1:160
	global_load_dword v52, v52, s[12:13] offset:16
	s_mov_b32 s6, 0xbaee
	global_load_dword v69, v69, s[12:13] offset:16
	v_mul_u32_u24_e32 v46, 0xf0, v46
	s_waitcnt lgkmcnt(0)
	v_lshrrev_b32_e32 v75, 16, v68
	v_mul_u32_u24_e32 v39, 0xf0, v39
	v_lshlrev_b32_e32 v45, 2, v45
	v_add3_u32 v39, 0, v39, v45
	v_mul_u32_u24_e32 v49, 0xf0, v49
	v_lshlrev_b32_e32 v50, 2, v50
	v_add3_u32 v49, 0, v49, v50
	s_movk_i32 s7, 0x89
	s_waitcnt vmcnt(7)
	v_mul_f16_sdwa v44, v54, v22 dst_sel:DWORD dst_unused:UNUSED_PAD src0_sel:WORD_1 src1_sel:DWORD
	v_fma_f16 v71, v54, v51, -v44
	v_mul_f16_sdwa v44, v54, v51 dst_sel:DWORD dst_unused:UNUSED_PAD src0_sel:WORD_1 src1_sel:DWORD
	v_fma_f16 v72, v54, v22, v44
	v_lshrrev_b32_e32 v22, 16, v65
	v_mul_f16_sdwa v44, v65, v55 dst_sel:DWORD dst_unused:UNUSED_PAD src0_sel:DWORD src1_sel:WORD_1
	v_fma_f16 v73, v22, v55, -v44
	v_mul_f16_sdwa v22, v22, v55 dst_sel:DWORD dst_unused:UNUSED_PAD src0_sel:DWORD src1_sel:WORD_1
	v_or_b32_e32 v44, 0x180, v10
	v_fma_f16 v74, v65, v55, v22
	v_mul_u32_u24_sdwa v22, v44, s5 dst_sel:DWORD dst_unused:UNUSED_PAD src0_sel:WORD_0 src1_sel:DWORD
	v_lshrrev_b32_e32 v22, 19, v22
	v_mul_lo_u16_e32 v51, 10, v22
	v_sub_u16_e32 v51, v44, v51
	v_mul_u32_u24_e32 v62, 5, v51
	v_lshlrev_b32_e32 v77, 2, v62
	global_load_dwordx4 v[62:65], v77, s[12:13]
	ds_read2_b32 v[54:55], v36 offset0:128 offset1:224
	v_mul_f16_sdwa v76, v68, v56 dst_sel:DWORD dst_unused:UNUSED_PAD src0_sel:DWORD src1_sel:WORD_1
	v_fma_f16 v76, v75, v56, -v76
	v_mul_f16_sdwa v75, v75, v56 dst_sel:DWORD dst_unused:UNUSED_PAD src0_sel:DWORD src1_sel:WORD_1
	v_fma_f16 v68, v68, v56, v75
	s_waitcnt lgkmcnt(0)
	v_lshrrev_b32_e32 v56, 16, v54
	v_mul_f16_sdwa v75, v54, v57 dst_sel:DWORD dst_unused:UNUSED_PAD src0_sel:DWORD src1_sel:WORD_1
	v_fma_f16 v75, v56, v57, -v75
	v_mul_f16_sdwa v56, v56, v57 dst_sel:DWORD dst_unused:UNUSED_PAD src0_sel:DWORD src1_sel:WORD_1
	v_fma_f16 v78, v54, v57, v56
	v_lshrrev_b32_e32 v54, 16, v66
	s_waitcnt vmcnt(6)
	v_mul_f16_sdwa v56, v54, v1 dst_sel:DWORD dst_unused:UNUSED_PAD src0_sel:DWORD src1_sel:WORD_1
	v_fma_f16 v79, v66, v1, v56
	v_mul_f16_sdwa v56, v66, v1 dst_sel:DWORD dst_unused:UNUSED_PAD src0_sel:DWORD src1_sel:WORD_1
	v_fma_f16 v66, v54, v1, -v56
	v_lshrrev_b32_e32 v1, 16, v55
	ds_read2_b32 v[56:57], v26 offset0:64 offset1:160
	v_mul_f16_sdwa v54, v1, v3 dst_sel:DWORD dst_unused:UNUSED_PAD src0_sel:DWORD src1_sel:WORD_1
	v_fma_f16 v80, v55, v3, v54
	v_mul_f16_sdwa v54, v55, v3 dst_sel:DWORD dst_unused:UNUSED_PAD src0_sel:DWORD src1_sel:WORD_1
	v_fma_f16 v81, v1, v3, -v54
	ds_read2_b32 v[54:55], v31 offset1:96
	s_waitcnt lgkmcnt(1)
	v_lshrrev_b32_e32 v1, 16, v56
	v_mul_f16_sdwa v3, v56, v0 dst_sel:DWORD dst_unused:UNUSED_PAD src0_sel:DWORD src1_sel:WORD_1
	v_fma_f16 v82, v1, v0, -v3
	v_mul_f16_sdwa v1, v1, v0 dst_sel:DWORD dst_unused:UNUSED_PAD src0_sel:DWORD src1_sel:WORD_1
	v_fma_f16 v56, v56, v0, v1
	s_waitcnt lgkmcnt(0)
	v_lshrrev_b32_e32 v0, 16, v54
	v_mul_f16_sdwa v1, v54, v2 dst_sel:DWORD dst_unused:UNUSED_PAD src0_sel:DWORD src1_sel:WORD_1
	v_fma_f16 v83, v0, v2, -v1
	v_mul_f16_sdwa v0, v0, v2 dst_sel:DWORD dst_unused:UNUSED_PAD src0_sel:DWORD src1_sel:WORD_1
	v_fma_f16 v54, v54, v2, v0
	v_lshrrev_b32_e32 v0, 16, v57
	s_waitcnt vmcnt(5)
	v_mul_f16_sdwa v1, v0, v4 dst_sel:DWORD dst_unused:UNUSED_PAD src0_sel:DWORD src1_sel:WORD_1
	v_fma_f16 v84, v57, v4, v1
	v_mul_f16_sdwa v1, v57, v4 dst_sel:DWORD dst_unused:UNUSED_PAD src0_sel:DWORD src1_sel:WORD_1
	v_lshrrev_b32_e32 v2, 16, v55
	v_fma_f16 v57, v0, v4, -v1
	ds_read2_b32 v[0:1], v24 offset0:128 offset1:224
	v_mul_f16_sdwa v3, v2, v6 dst_sel:DWORD dst_unused:UNUSED_PAD src0_sel:DWORD src1_sel:WORD_1
	v_fma_f16 v85, v55, v6, v3
	v_mul_f16_sdwa v3, v55, v6 dst_sel:DWORD dst_unused:UNUSED_PAD src0_sel:DWORD src1_sel:WORD_1
	v_fma_f16 v55, v2, v6, -v3
	ds_read2_b32 v[2:3], v30 offset0:64 offset1:160
	s_waitcnt lgkmcnt(1)
	v_lshrrev_b32_e32 v4, 16, v0
	v_mul_f16_sdwa v6, v0, v5 dst_sel:DWORD dst_unused:UNUSED_PAD src0_sel:DWORD src1_sel:WORD_1
	v_fma_f16 v86, v4, v5, -v6
	v_mul_f16_sdwa v4, v4, v5 dst_sel:DWORD dst_unused:UNUSED_PAD src0_sel:DWORD src1_sel:WORD_1
	v_fma_f16 v87, v0, v5, v4
	s_waitcnt lgkmcnt(0)
	v_lshrrev_b32_e32 v0, 16, v2
	v_mul_f16_sdwa v4, v2, v7 dst_sel:DWORD dst_unused:UNUSED_PAD src0_sel:DWORD src1_sel:WORD_1
	v_fma_f16 v88, v0, v7, -v4
	v_mul_f16_sdwa v0, v0, v7 dst_sel:DWORD dst_unused:UNUSED_PAD src0_sel:DWORD src1_sel:WORD_1
	v_fma_f16 v89, v2, v7, v0
	v_lshrrev_b32_e32 v0, 16, v1
	s_waitcnt vmcnt(4)
	v_mul_f16_sdwa v2, v0, v59 dst_sel:DWORD dst_unused:UNUSED_PAD src0_sel:DWORD src1_sel:WORD_1
	v_fma_f16 v90, v1, v59, v2
	v_mul_f16_sdwa v1, v1, v59 dst_sel:DWORD dst_unused:UNUSED_PAD src0_sel:DWORD src1_sel:WORD_1
	v_lshrrev_b32_e32 v2, 16, v3
	v_fma_f16 v59, v0, v59, -v1
	ds_read2_b32 v[0:1], v35 offset1:96
	v_mul_f16_sdwa v4, v2, v61 dst_sel:DWORD dst_unused:UNUSED_PAD src0_sel:DWORD src1_sel:WORD_1
	v_fma_f16 v91, v3, v61, v4
	v_mul_f16_sdwa v3, v3, v61 dst_sel:DWORD dst_unused:UNUSED_PAD src0_sel:DWORD src1_sel:WORD_1
	v_fma_f16 v61, v2, v61, -v3
	ds_read2_b32 v[2:3], v27 offset0:64 offset1:160
	s_waitcnt lgkmcnt(1)
	v_lshrrev_b32_e32 v4, 16, v0
	v_mul_f16_sdwa v5, v0, v58 dst_sel:DWORD dst_unused:UNUSED_PAD src0_sel:DWORD src1_sel:WORD_1
	v_fma_f16 v92, v4, v58, -v5
	v_mul_f16_sdwa v4, v4, v58 dst_sel:DWORD dst_unused:UNUSED_PAD src0_sel:DWORD src1_sel:WORD_1
	v_fma_f16 v58, v0, v58, v4
	s_waitcnt lgkmcnt(0)
	v_lshrrev_b32_e32 v0, 16, v2
	v_mul_f16_sdwa v4, v2, v60 dst_sel:DWORD dst_unused:UNUSED_PAD src0_sel:DWORD src1_sel:WORD_1
	v_fma_f16 v93, v0, v60, -v4
	v_mul_f16_sdwa v0, v0, v60 dst_sel:DWORD dst_unused:UNUSED_PAD src0_sel:DWORD src1_sel:WORD_1
	v_fma_f16 v60, v2, v60, v0
	v_lshrrev_b32_e32 v0, 16, v1
	global_load_dword v77, v77, s[12:13] offset:16
	v_sub_f16_e32 v97, v73, v75
	s_waitcnt vmcnt(1)
	v_mul_f16_sdwa v2, v0, v62 dst_sel:DWORD dst_unused:UNUSED_PAD src0_sel:DWORD src1_sel:WORD_1
	v_fma_f16 v94, v1, v62, v2
	v_mul_f16_sdwa v1, v1, v62 dst_sel:DWORD dst_unused:UNUSED_PAD src0_sel:DWORD src1_sel:WORD_1
	v_fma_f16 v62, v0, v62, -v1
	v_lshrrev_b32_e32 v0, 16, v67
	v_mul_f16_sdwa v1, v0, v63 dst_sel:DWORD dst_unused:UNUSED_PAD src0_sel:DWORD src1_sel:WORD_1
	v_fma_f16 v95, v67, v63, v1
	v_mul_f16_sdwa v1, v67, v63 dst_sel:DWORD dst_unused:UNUSED_PAD src0_sel:DWORD src1_sel:WORD_1
	v_fma_f16 v63, v0, v63, -v1
	ds_read2_b32 v[0:1], v25 offset1:96
	v_lshrrev_b32_e32 v2, 16, v3
	v_mul_f16_sdwa v4, v2, v64 dst_sel:DWORD dst_unused:UNUSED_PAD src0_sel:DWORD src1_sel:WORD_1
	v_fma_f16 v67, v3, v64, v4
	v_mul_f16_sdwa v3, v3, v64 dst_sel:DWORD dst_unused:UNUSED_PAD src0_sel:DWORD src1_sel:WORD_1
	v_fma_f16 v64, v2, v64, -v3
	s_waitcnt lgkmcnt(0)
	v_lshrrev_b32_e32 v2, 16, v0
	v_mul_f16_sdwa v3, v0, v65 dst_sel:DWORD dst_unused:UNUSED_PAD src0_sel:DWORD src1_sel:WORD_1
	v_fma_f16 v96, v2, v65, -v3
	v_mul_f16_sdwa v2, v2, v65 dst_sel:DWORD dst_unused:UNUSED_PAD src0_sel:DWORD src1_sel:WORD_1
	v_fma_f16 v65, v0, v65, v2
	ds_read2_b32 v[2:3], v23 offset1:96
	v_lshrrev_b32_e32 v0, 16, v1
	v_mul_f16_sdwa v4, v0, v70 dst_sel:DWORD dst_unused:UNUSED_PAD src0_sel:DWORD src1_sel:WORD_1
	v_fma_f16 v4, v1, v70, v4
	v_mul_f16_sdwa v1, v1, v70 dst_sel:DWORD dst_unused:UNUSED_PAD src0_sel:DWORD src1_sel:WORD_1
	v_fma_f16 v0, v0, v70, -v1
	s_waitcnt lgkmcnt(0)
	v_lshrrev_b32_e32 v1, 16, v2
	v_add_f16_e32 v5, v1, v73
	v_add_f16_e32 v70, v5, v75
	;; [unrolled: 1-line block ×3, first 2 shown]
	v_fma_f16 v73, v5, -0.5, v1
	v_add_f16_e32 v1, v2, v74
	v_add_f16_e32 v5, v71, v76
	v_add_f16_e32 v75, v1, v78
	v_add_f16_e32 v1, v74, v78
	v_sub_f16_e32 v74, v74, v78
	v_add_f16_e32 v78, v5, v0
	v_sub_f16_e32 v98, v76, v0
	v_add_f16_e32 v0, v76, v0
	v_fma_f16 v71, v0, -0.5, v71
	v_add_f16_e32 v0, v68, v4
	v_fma_f16 v76, v0, -0.5, v72
	v_add_f16_e32 v0, v72, v68
	v_sub_f16_e32 v68, v68, v4
	s_movk_i32 s5, 0x3aee
	v_add_f16_e32 v72, v0, v4
	v_fma_f16 v4, v68, s5, v71
	v_fma_f16 v0, v98, s6, v76
	v_mul_f16_e32 v5, 0xbaee, v4
	v_mul_f16_e32 v4, 0.5, v4
	v_fma_f16 v99, v0, 0.5, v5
	v_fma_f16 v100, v0, s5, v4
	v_mul_u32_u24_e32 v0, 0xf0, v40
	v_mov_b32_e32 v40, 2
	v_fma_f16 v68, v68, s6, v71
	v_lshlrev_b32_sdwa v4, v40, v48 dst_sel:DWORD dst_unused:UNUSED_PAD src0_sel:DWORD src1_sel:BYTE_0
	v_fma_f16 v2, v1, -0.5, v2
	v_fma_f16 v103, v74, s5, v73
	v_fma_f16 v73, v74, s6, v73
	;; [unrolled: 1-line block ×3, first 2 shown]
	v_mul_f16_e32 v71, 0xbaee, v68
	v_mul_f16_e32 v68, -0.5, v68
	v_add3_u32 v48, 0, v0, v4
	v_add_f16_e32 v0, v75, v72
	v_add_f16_e32 v4, v70, v78
	v_fma_f16 v102, v97, s6, v2
	v_fma_f16 v2, v97, s5, v2
	v_fma_f16 v71, v74, -0.5, v71
	v_fma_f16 v68, v74, s5, v68
	v_pack_b32_f16 v101, v0, v4
	v_add_f16_e32 v0, v102, v99
	v_add_f16_e32 v1, v103, v100
	v_sub_f16_e32 v72, v75, v72
	v_sub_f16_e32 v70, v70, v78
	v_add_f16_e32 v74, v2, v71
	v_add_f16_e32 v75, v73, v68
	v_pack_b32_f16 v104, v0, v1
	ds_read2_b32 v[0:1], v34 offset0:64 offset1:160
	ds_read2_b32 v[4:5], v37 offset0:64 offset1:160
	;; [unrolled: 1-line block ×3, first 2 shown]
	v_pack_b32_f16 v74, v74, v75
	v_pack_b32_f16 v70, v72, v70
	s_waitcnt vmcnt(0) lgkmcnt(0)
	s_barrier
	ds_write2_b32 v48, v74, v70 offset0:20 offset1:30
	v_sub_f16_e32 v70, v102, v99
	v_sub_f16_e32 v2, v2, v71
	;; [unrolled: 1-line block ×4, first 2 shown]
	v_pack_b32_f16 v70, v70, v71
	v_pack_b32_f16 v2, v2, v68
	ds_write2_b32 v48, v101, v104 offset1:10
	ds_write2_b32 v48, v70, v2 offset0:40 offset1:50
	v_lshrrev_b32_e32 v2, 16, v0
	v_mul_f16_sdwa v48, v0, v52 dst_sel:DWORD dst_unused:UNUSED_PAD src0_sel:DWORD src1_sel:WORD_1
	v_fma_f16 v48, v2, v52, -v48
	v_mul_f16_sdwa v2, v2, v52 dst_sel:DWORD dst_unused:UNUSED_PAD src0_sel:DWORD src1_sel:WORD_1
	v_fma_f16 v0, v0, v52, v2
	v_add_f16_e32 v71, v82, v83
	v_add_f16_e32 v73, v54, v0
	;; [unrolled: 1-line block ×3, first 2 shown]
	v_sub_f16_e32 v72, v83, v48
	v_add_f16_e32 v48, v83, v48
	v_fma_f16 v73, v73, -0.5, v56
	v_add_f16_e32 v56, v56, v54
	v_add_f16_e32 v2, v79, v80
	v_lshrrev_b32_e32 v52, 16, v3
	v_fma_f16 v48, v48, -0.5, v82
	v_add_f16_e32 v56, v56, v0
	v_sub_f16_e32 v0, v54, v0
	v_fma_f16 v2, v2, -0.5, v3
	v_add_f16_e32 v3, v3, v79
	v_add_f16_e32 v68, v52, v66
	v_fma_f16 v74, v0, s5, v48
	v_add_f16_e32 v68, v68, v81
	v_sub_f16_e32 v70, v66, v81
	v_add_f16_e32 v66, v66, v81
	v_add_f16_e32 v3, v3, v80
	v_fma_f16 v54, v72, s6, v73
	v_mul_f16_e32 v75, 0xbaee, v74
	v_mul_f16_e32 v74, 0.5, v74
	v_lshlrev_b32_sdwa v47, v40, v47 dst_sel:DWORD dst_unused:UNUSED_PAD src0_sel:DWORD src1_sel:BYTE_0
	v_fma_f16 v52, v66, -0.5, v52
	v_sub_f16_e32 v66, v79, v80
	v_fma_f16 v75, v54, 0.5, v75
	v_fma_f16 v54, v54, s5, v74
	v_add3_u32 v46, 0, v46, v47
	v_add_f16_e32 v47, v3, v56
	v_add_f16_e32 v74, v68, v71
	v_pack_b32_f16 v47, v47, v74
	v_fma_f16 v74, v70, s6, v2
	v_fma_f16 v76, v66, s5, v52
	v_add_f16_e32 v78, v74, v75
	v_add_f16_e32 v79, v76, v54
	v_pack_b32_f16 v78, v78, v79
	v_fma_f16 v0, v0, s6, v48
	ds_write2_b32 v46, v47, v78 offset1:10
	v_fma_f16 v47, v66, s6, v52
	v_fma_f16 v52, v72, s5, v73
	v_mul_f16_e32 v48, 0xbaee, v0
	v_mul_f16_e32 v0, -0.5, v0
	v_fma_f16 v2, v70, s5, v2
	v_fma_f16 v48, v52, -0.5, v48
	v_fma_f16 v0, v52, s5, v0
	v_sub_f16_e32 v3, v3, v56
	v_sub_f16_e32 v52, v68, v71
	v_add_f16_e32 v56, v2, v48
	v_add_f16_e32 v66, v47, v0
	v_pack_b32_f16 v56, v56, v66
	v_pack_b32_f16 v3, v3, v52
	ds_write2_b32 v46, v56, v3 offset0:20 offset1:30
	v_sub_f16_e32 v3, v74, v75
	v_sub_f16_e32 v2, v2, v48
	;; [unrolled: 1-line block ×4, first 2 shown]
	v_pack_b32_f16 v3, v3, v48
	v_pack_b32_f16 v0, v2, v0
	ds_write2_b32 v46, v3, v0 offset0:40 offset1:50
	v_lshrrev_b32_e32 v0, 16, v1
	v_mul_f16_sdwa v2, v0, v53 dst_sel:DWORD dst_unused:UNUSED_PAD src0_sel:DWORD src1_sel:WORD_1
	v_fma_f16 v2, v1, v53, v2
	v_mul_f16_sdwa v1, v1, v53 dst_sel:DWORD dst_unused:UNUSED_PAD src0_sel:DWORD src1_sel:WORD_1
	v_fma_f16 v0, v0, v53, -v1
	v_add_f16_e32 v53, v57, v55
	v_add_f16_e32 v53, v53, v0
	v_sub_f16_e32 v54, v55, v0
	v_add_f16_e32 v0, v55, v0
	v_add_f16_e32 v56, v84, v85
	v_lshrrev_b32_e32 v1, 16, v4
	v_add_f16_e32 v47, v86, v88
	v_fma_f16 v0, v0, -0.5, v57
	v_add_f16_e32 v55, v85, v2
	v_add_f16_e32 v56, v56, v2
	v_sub_f16_e32 v2, v85, v2
	v_add_f16_e32 v3, v1, v86
	v_fma_f16 v1, v47, -0.5, v1
	v_add_f16_e32 v47, v4, v87
	v_fma_f16 v55, v55, -0.5, v84
	v_fma_f16 v66, v2, s5, v0
	v_add_f16_e32 v3, v3, v88
	v_add_f16_e32 v47, v47, v89
	v_add_f16_e32 v48, v87, v89
	v_fma_f16 v57, v54, s6, v55
	v_mul_f16_e32 v68, 0xbaee, v66
	v_mul_f16_e32 v66, 0.5, v66
	v_sub_f16_e32 v46, v86, v88
	v_sub_f16_e32 v52, v87, v89
	v_fma_f16 v68, v57, 0.5, v68
	v_fma_f16 v57, v57, s5, v66
	v_add_f16_e32 v45, v47, v56
	v_add_f16_e32 v66, v3, v53
	v_fma_f16 v4, v48, -0.5, v4
	v_pack_b32_f16 v45, v45, v66
	v_fma_f16 v48, v46, s6, v4
	v_fma_f16 v66, v52, s5, v1
	v_add_f16_e32 v70, v48, v68
	v_add_f16_e32 v71, v66, v57
	v_pack_b32_f16 v70, v70, v71
	v_fma_f16 v0, v2, s6, v0
	ds_write2_b32 v39, v45, v70 offset1:10
	v_fma_f16 v45, v54, s5, v55
	v_mul_f16_e32 v2, 0xbaee, v0
	v_mul_f16_e32 v0, -0.5, v0
	v_fma_f16 v4, v46, s5, v4
	v_fma_f16 v1, v52, s6, v1
	v_fma_f16 v2, v45, -0.5, v2
	v_fma_f16 v0, v45, s5, v0
	v_sub_f16_e32 v45, v47, v56
	v_sub_f16_e32 v3, v3, v53
	v_add_f16_e32 v46, v4, v2
	v_add_f16_e32 v47, v1, v0
	v_pack_b32_f16 v46, v46, v47
	v_pack_b32_f16 v3, v45, v3
	ds_write2_b32 v39, v46, v3 offset0:20 offset1:30
	v_sub_f16_e32 v3, v48, v68
	v_sub_f16_e32 v2, v4, v2
	;; [unrolled: 1-line block ×4, first 2 shown]
	v_pack_b32_f16 v1, v3, v4
	v_pack_b32_f16 v0, v2, v0
	ds_write2_b32 v39, v1, v0 offset0:40 offset1:50
	v_lshrrev_b32_e32 v0, 16, v6
	v_mul_f16_sdwa v1, v6, v69 dst_sel:DWORD dst_unused:UNUSED_PAD src0_sel:DWORD src1_sel:WORD_1
	v_fma_f16 v1, v0, v69, -v1
	v_mul_f16_sdwa v0, v0, v69 dst_sel:DWORD dst_unused:UNUSED_PAD src0_sel:DWORD src1_sel:WORD_1
	v_add_f16_e32 v45, v92, v93
	v_fma_f16 v0, v6, v69, v0
	v_add_f16_e32 v45, v45, v1
	v_sub_f16_e32 v46, v93, v1
	v_add_f16_e32 v1, v93, v1
	v_add_f16_e32 v48, v58, v60
	;; [unrolled: 1-line block ×3, first 2 shown]
	v_lshrrev_b32_e32 v3, 16, v5
	v_fma_f16 v1, v1, -0.5, v92
	v_add_f16_e32 v47, v60, v0
	v_add_f16_e32 v48, v48, v0
	v_sub_f16_e32 v0, v60, v0
	v_fma_f16 v2, v2, -0.5, v5
	v_add_f16_e32 v4, v5, v90
	v_add_f16_e32 v5, v3, v59
	v_fma_f16 v47, v47, -0.5, v58
	v_fma_f16 v53, v0, s5, v1
	v_add_f16_e32 v5, v5, v61
	v_add_f16_e32 v4, v4, v91
	v_fma_f16 v52, v46, s6, v47
	v_mul_f16_e32 v54, 0xbaee, v53
	v_mul_f16_e32 v53, 0.5, v53
	v_sub_f16_e32 v6, v59, v61
	v_add_f16_e32 v39, v59, v61
	v_fma_f16 v54, v52, 0.5, v54
	v_fma_f16 v52, v52, s5, v53
	v_add_f16_e32 v50, v4, v48
	v_add_f16_e32 v53, v5, v45
	v_fma_f16 v0, v0, s6, v1
	v_fma_f16 v3, v39, -0.5, v3
	v_sub_f16_e32 v39, v90, v91
	v_pack_b32_f16 v50, v50, v53
	v_fma_f16 v53, v6, s6, v2
	v_fma_f16 v2, v6, s5, v2
	;; [unrolled: 1-line block ×3, first 2 shown]
	v_mul_f16_e32 v1, 0xbaee, v0
	v_mul_f16_e32 v0, -0.5, v0
	v_fma_f16 v55, v39, s5, v3
	v_fma_f16 v3, v39, s6, v3
	v_fma_f16 v1, v6, -0.5, v1
	v_fma_f16 v0, v6, s5, v0
	v_sub_f16_e32 v4, v4, v48
	v_sub_f16_e32 v5, v5, v45
	v_add_f16_e32 v6, v2, v1
	v_add_f16_e32 v39, v3, v0
	v_pack_b32_f16 v6, v6, v39
	v_pack_b32_f16 v4, v4, v5
	ds_write2_b32 v49, v6, v4 offset0:20 offset1:30
	v_sub_f16_e32 v4, v53, v54
	v_sub_f16_e32 v1, v2, v1
	;; [unrolled: 1-line block ×4, first 2 shown]
	v_pack_b32_f16 v2, v4, v2
	v_pack_b32_f16 v0, v1, v0
	ds_write2_b32 v49, v2, v0 offset0:40 offset1:50
	v_lshrrev_b32_e32 v0, 16, v7
	v_mul_f16_sdwa v2, v7, v77 dst_sel:DWORD dst_unused:UNUSED_PAD src0_sel:DWORD src1_sel:WORD_1
	v_mul_f16_sdwa v1, v0, v77 dst_sel:DWORD dst_unused:UNUSED_PAD src0_sel:DWORD src1_sel:WORD_1
	v_fma_f16 v0, v0, v77, -v2
	v_add_f16_e32 v2, v95, v65
	v_fma_f16 v2, v2, -0.5, v21
	v_lshrrev_b32_e32 v3, 16, v21
	v_add_f16_e32 v4, v21, v95
	v_add_f16_e32 v21, v62, v64
	v_fma_f16 v1, v7, v77, v1
	v_add_f16_e32 v21, v21, v0
	v_sub_f16_e32 v39, v64, v0
	v_add_f16_e32 v0, v64, v0
	v_add_f16_e32 v46, v94, v67
	;; [unrolled: 1-line block ×4, first 2 shown]
	v_fma_f16 v0, v0, -0.5, v62
	v_add_f16_e32 v45, v67, v1
	v_add_f16_e32 v46, v46, v1
	v_sub_f16_e32 v1, v67, v1
	v_pack_b32_f16 v56, v56, v57
	v_fma_f16 v45, v45, -0.5, v94
	v_fma_f16 v48, v1, s5, v0
	ds_write2_b32 v49, v50, v56 offset1:10
	v_add_f16_e32 v5, v3, v63
	v_fma_f16 v47, v39, s6, v45
	v_mul_f16_e32 v49, 0xbaee, v48
	v_mul_f16_e32 v48, 0.5, v48
	v_add_f16_e32 v5, v5, v96
	v_add_f16_e32 v4, v4, v65
	v_fma_f16 v49, v47, 0.5, v49
	v_fma_f16 v47, v47, s5, v48
	v_mul_u32_u24_e32 v22, 0xf0, v22
	v_lshlrev_b32_e32 v48, 2, v51
	v_sub_f16_e32 v6, v63, v96
	v_add_f16_e32 v7, v63, v96
	v_add3_u32 v22, 0, v22, v48
	v_add_f16_e32 v48, v4, v46
	v_add_f16_e32 v50, v5, v21
	v_fma_f16 v0, v1, s6, v0
	v_fma_f16 v3, v7, -0.5, v3
	v_sub_f16_e32 v7, v95, v65
	v_pack_b32_f16 v48, v48, v50
	v_fma_f16 v50, v6, s6, v2
	v_fma_f16 v2, v6, s5, v2
	;; [unrolled: 1-line block ×3, first 2 shown]
	v_mul_f16_e32 v1, 0xbaee, v0
	v_mul_f16_e32 v0, -0.5, v0
	v_fma_f16 v51, v7, s5, v3
	v_fma_f16 v3, v7, s6, v3
	v_fma_f16 v1, v6, -0.5, v1
	v_fma_f16 v0, v6, s5, v0
	v_sub_f16_e32 v4, v4, v46
	v_sub_f16_e32 v5, v5, v21
	v_add_f16_e32 v6, v2, v1
	v_add_f16_e32 v7, v3, v0
	v_pack_b32_f16 v6, v6, v7
	v_pack_b32_f16 v4, v4, v5
	ds_write2_b32 v22, v6, v4 offset0:20 offset1:30
	v_sub_f16_e32 v4, v50, v49
	v_sub_f16_e32 v1, v2, v1
	;; [unrolled: 1-line block ×4, first 2 shown]
	v_pack_b32_f16 v2, v4, v2
	v_pack_b32_f16 v0, v1, v0
	ds_write2_b32 v22, v2, v0 offset0:40 offset1:50
	v_subrev_u32_e32 v0, 60, v10
	v_add_f16_e32 v53, v51, v47
	v_cndmask_b32_e32 v47, v0, v10, vcc
	v_mul_i32_i24_e32 v0, 5, v47
	v_mov_b32_e32 v1, v11
	v_lshlrev_b64 v[0:1], 2, v[0:1]
	v_add_f16_e32 v52, v50, v49
	v_mov_b32_e32 v39, s13
	v_add_co_u32_e32 v59, vcc, s12, v0
	v_pack_b32_f16 v52, v52, v53
	v_addc_co_u32_e32 v60, vcc, v39, v1, vcc
	ds_write2_b32 v22, v48, v52 offset1:10
	s_waitcnt lgkmcnt(0)
	s_barrier
	global_load_dwordx4 v[51:54], v[59:60], off offset:200
	global_load_dword v67, v[59:60], off offset:216
	v_mul_lo_u16_sdwa v0, v42, s7 dst_sel:DWORD dst_unused:UNUSED_PAD src0_sel:BYTE_0 src1_sel:DWORD
	v_lshrrev_b16_e32 v45, 13, v0
	v_mul_lo_u16_e32 v0, 60, v45
	v_sub_u16_e32 v46, v42, v0
	v_mul_u32_u24_sdwa v0, v46, v41 dst_sel:DWORD dst_unused:UNUSED_PAD src0_sel:BYTE_0 src1_sel:DWORD
	v_lshlrev_b32_e32 v49, 2, v0
	global_load_dwordx4 v[0:3], v49, s[12:13] offset:200
	s_mov_b32 s7, 0x8889
	v_mul_u32_u24_sdwa v4, v43, s7 dst_sel:DWORD dst_unused:UNUSED_PAD src0_sel:WORD_0 src1_sel:DWORD
	v_lshrrev_b32_e32 v41, 21, v4
	v_mul_lo_u16_e32 v4, 60, v41
	v_sub_u16_e32 v42, v43, v4
	v_mul_u32_u24_e32 v4, 5, v42
	v_lshlrev_b32_e32 v50, 2, v4
	global_load_dwordx4 v[4:7], v50, s[12:13] offset:200
	v_mul_u32_u24_sdwa v43, v38, s7 dst_sel:DWORD dst_unused:UNUSED_PAD src0_sel:WORD_0 src1_sel:DWORD
	v_lshrrev_b32_e32 v43, 21, v43
	v_mul_lo_u16_e32 v48, 60, v43
	ds_read2_b32 v[21:22], v32 offset0:128 offset1:224
	v_sub_u16_e32 v48, v38, v48
	v_mul_u32_u24_e32 v55, 5, v48
	v_lshlrev_b32_e32 v66, 2, v55
	ds_read2_b32 v[62:63], v28 offset0:64 offset1:160
	global_load_dwordx4 v[55:58], v66, s[12:13] offset:200
	s_waitcnt lgkmcnt(1)
	v_lshrrev_b32_e32 v61, 16, v22
	global_load_dword v50, v50, s[12:13] offset:216
	ds_read2_b32 v[64:65], v33 offset0:64 offset1:160
	global_load_dword v49, v49, s[12:13] offset:216
	v_cmp_lt_u32_e32 vcc, 59, v10
	global_load_dword v66, v66, s[12:13] offset:216
	v_lshlrev_b32_sdwa v40, v40, v46 dst_sel:DWORD dst_unused:UNUSED_PAD src0_sel:DWORD src1_sel:BYTE_0
	s_waitcnt lgkmcnt(0)
	v_lshrrev_b32_e32 v72, 16, v65
	v_mul_u32_u24_e32 v45, 0x5a0, v45
	v_add3_u32 v40, 0, v45, v40
	v_mul_u32_u24_e32 v41, 0x5a0, v41
	v_lshlrev_b32_e32 v42, 2, v42
	v_add3_u32 v41, 0, v41, v42
	v_mul_u32_u24_e32 v43, 0x5a0, v43
	v_lshlrev_b32_e32 v48, 2, v48
	v_add3_u32 v43, 0, v43, v48
	s_waitcnt vmcnt(7)
	v_mul_f16_sdwa v59, v51, v22 dst_sel:DWORD dst_unused:UNUSED_PAD src0_sel:WORD_1 src1_sel:DWORD
	v_fma_f16 v68, v51, v61, -v59
	v_mul_f16_sdwa v59, v51, v61 dst_sel:DWORD dst_unused:UNUSED_PAD src0_sel:WORD_1 src1_sel:DWORD
	v_fma_f16 v69, v51, v22, v59
	v_lshrrev_b32_e32 v22, 16, v62
	v_mul_f16_sdwa v51, v52, v62 dst_sel:DWORD dst_unused:UNUSED_PAD src0_sel:WORD_1 src1_sel:DWORD
	v_fma_f16 v70, v52, v22, -v51
	v_mul_f16_sdwa v22, v52, v22 dst_sel:DWORD dst_unused:UNUSED_PAD src0_sel:WORD_1 src1_sel:DWORD
	v_fma_f16 v71, v52, v62, v22
	v_mul_u32_u24_sdwa v22, v44, s7 dst_sel:DWORD dst_unused:UNUSED_PAD src0_sel:WORD_0 src1_sel:DWORD
	v_lshrrev_b32_e32 v22, 21, v22
	v_mul_lo_u16_e32 v59, 60, v22
	v_sub_u16_e32 v44, v44, v59
	v_mul_u32_u24_e32 v59, 5, v44
	v_lshlrev_b32_e32 v74, 2, v59
	global_load_dwordx4 v[59:62], v74, s[12:13] offset:200
	ds_read2_b32 v[51:52], v36 offset0:128 offset1:224
	v_mul_f16_sdwa v73, v53, v65 dst_sel:DWORD dst_unused:UNUSED_PAD src0_sel:WORD_1 src1_sel:DWORD
	v_fma_f16 v73, v53, v72, -v73
	v_mul_f16_sdwa v72, v53, v72 dst_sel:DWORD dst_unused:UNUSED_PAD src0_sel:WORD_1 src1_sel:DWORD
	v_fma_f16 v65, v53, v65, v72
	s_waitcnt lgkmcnt(0)
	v_lshrrev_b32_e32 v53, 16, v51
	v_mul_f16_sdwa v72, v51, v54 dst_sel:DWORD dst_unused:UNUSED_PAD src0_sel:DWORD src1_sel:WORD_1
	v_fma_f16 v72, v53, v54, -v72
	v_mul_f16_sdwa v53, v53, v54 dst_sel:DWORD dst_unused:UNUSED_PAD src0_sel:DWORD src1_sel:WORD_1
	v_fma_f16 v75, v51, v54, v53
	v_lshrrev_b32_e32 v51, 16, v63
	s_waitcnt vmcnt(6)
	v_mul_f16_sdwa v53, v51, v1 dst_sel:DWORD dst_unused:UNUSED_PAD src0_sel:DWORD src1_sel:WORD_1
	v_fma_f16 v76, v63, v1, v53
	v_mul_f16_sdwa v53, v63, v1 dst_sel:DWORD dst_unused:UNUSED_PAD src0_sel:DWORD src1_sel:WORD_1
	v_fma_f16 v63, v51, v1, -v53
	v_lshrrev_b32_e32 v1, 16, v52
	ds_read2_b32 v[53:54], v26 offset0:64 offset1:160
	v_mul_f16_sdwa v51, v1, v3 dst_sel:DWORD dst_unused:UNUSED_PAD src0_sel:DWORD src1_sel:WORD_1
	v_fma_f16 v77, v52, v3, v51
	v_mul_f16_sdwa v51, v52, v3 dst_sel:DWORD dst_unused:UNUSED_PAD src0_sel:DWORD src1_sel:WORD_1
	v_fma_f16 v78, v1, v3, -v51
	ds_read2_b32 v[51:52], v31 offset1:96
	s_waitcnt lgkmcnt(1)
	v_lshrrev_b32_e32 v1, 16, v53
	v_mul_f16_sdwa v3, v53, v0 dst_sel:DWORD dst_unused:UNUSED_PAD src0_sel:DWORD src1_sel:WORD_1
	v_fma_f16 v79, v1, v0, -v3
	v_mul_f16_sdwa v1, v1, v0 dst_sel:DWORD dst_unused:UNUSED_PAD src0_sel:DWORD src1_sel:WORD_1
	v_fma_f16 v53, v53, v0, v1
	s_waitcnt lgkmcnt(0)
	v_lshrrev_b32_e32 v0, 16, v51
	v_mul_f16_sdwa v1, v51, v2 dst_sel:DWORD dst_unused:UNUSED_PAD src0_sel:DWORD src1_sel:WORD_1
	v_fma_f16 v80, v0, v2, -v1
	v_mul_f16_sdwa v0, v0, v2 dst_sel:DWORD dst_unused:UNUSED_PAD src0_sel:DWORD src1_sel:WORD_1
	v_fma_f16 v51, v51, v2, v0
	v_lshrrev_b32_e32 v0, 16, v54
	s_waitcnt vmcnt(5)
	v_mul_f16_sdwa v1, v0, v4 dst_sel:DWORD dst_unused:UNUSED_PAD src0_sel:DWORD src1_sel:WORD_1
	v_fma_f16 v81, v54, v4, v1
	v_mul_f16_sdwa v1, v54, v4 dst_sel:DWORD dst_unused:UNUSED_PAD src0_sel:DWORD src1_sel:WORD_1
	v_lshrrev_b32_e32 v2, 16, v52
	v_fma_f16 v54, v0, v4, -v1
	ds_read2_b32 v[0:1], v24 offset0:128 offset1:224
	v_mul_f16_sdwa v3, v2, v6 dst_sel:DWORD dst_unused:UNUSED_PAD src0_sel:DWORD src1_sel:WORD_1
	v_fma_f16 v82, v52, v6, v3
	v_mul_f16_sdwa v3, v52, v6 dst_sel:DWORD dst_unused:UNUSED_PAD src0_sel:DWORD src1_sel:WORD_1
	v_fma_f16 v52, v2, v6, -v3
	ds_read2_b32 v[2:3], v30 offset0:64 offset1:160
	s_waitcnt lgkmcnt(1)
	v_lshrrev_b32_e32 v4, 16, v0
	v_mul_f16_sdwa v6, v0, v5 dst_sel:DWORD dst_unused:UNUSED_PAD src0_sel:DWORD src1_sel:WORD_1
	v_fma_f16 v83, v4, v5, -v6
	v_mul_f16_sdwa v4, v4, v5 dst_sel:DWORD dst_unused:UNUSED_PAD src0_sel:DWORD src1_sel:WORD_1
	v_fma_f16 v84, v0, v5, v4
	s_waitcnt lgkmcnt(0)
	v_lshrrev_b32_e32 v0, 16, v2
	v_mul_f16_sdwa v4, v2, v7 dst_sel:DWORD dst_unused:UNUSED_PAD src0_sel:DWORD src1_sel:WORD_1
	v_fma_f16 v85, v0, v7, -v4
	v_mul_f16_sdwa v0, v0, v7 dst_sel:DWORD dst_unused:UNUSED_PAD src0_sel:DWORD src1_sel:WORD_1
	v_fma_f16 v86, v2, v7, v0
	v_lshrrev_b32_e32 v0, 16, v1
	s_waitcnt vmcnt(4)
	v_mul_f16_sdwa v2, v0, v56 dst_sel:DWORD dst_unused:UNUSED_PAD src0_sel:DWORD src1_sel:WORD_1
	v_fma_f16 v87, v1, v56, v2
	v_mul_f16_sdwa v1, v1, v56 dst_sel:DWORD dst_unused:UNUSED_PAD src0_sel:DWORD src1_sel:WORD_1
	v_lshrrev_b32_e32 v2, 16, v3
	v_fma_f16 v56, v0, v56, -v1
	ds_read2_b32 v[0:1], v35 offset1:96
	v_mul_f16_sdwa v4, v2, v58 dst_sel:DWORD dst_unused:UNUSED_PAD src0_sel:DWORD src1_sel:WORD_1
	v_fma_f16 v88, v3, v58, v4
	v_mul_f16_sdwa v3, v3, v58 dst_sel:DWORD dst_unused:UNUSED_PAD src0_sel:DWORD src1_sel:WORD_1
	v_fma_f16 v58, v2, v58, -v3
	ds_read2_b32 v[2:3], v27 offset0:64 offset1:160
	s_waitcnt lgkmcnt(1)
	v_lshrrev_b32_e32 v4, 16, v0
	v_mul_f16_sdwa v5, v0, v55 dst_sel:DWORD dst_unused:UNUSED_PAD src0_sel:DWORD src1_sel:WORD_1
	v_fma_f16 v89, v4, v55, -v5
	v_mul_f16_sdwa v4, v4, v55 dst_sel:DWORD dst_unused:UNUSED_PAD src0_sel:DWORD src1_sel:WORD_1
	v_fma_f16 v55, v0, v55, v4
	s_waitcnt lgkmcnt(0)
	v_lshrrev_b32_e32 v0, 16, v2
	v_mul_f16_sdwa v4, v2, v57 dst_sel:DWORD dst_unused:UNUSED_PAD src0_sel:DWORD src1_sel:WORD_1
	v_fma_f16 v90, v0, v57, -v4
	v_mul_f16_sdwa v0, v0, v57 dst_sel:DWORD dst_unused:UNUSED_PAD src0_sel:DWORD src1_sel:WORD_1
	v_fma_f16 v57, v2, v57, v0
	v_lshrrev_b32_e32 v0, 16, v1
	global_load_dword v74, v74, s[12:13] offset:216
	v_sub_f16_e32 v94, v70, v72
	s_waitcnt vmcnt(1)
	v_mul_f16_sdwa v2, v0, v59 dst_sel:DWORD dst_unused:UNUSED_PAD src0_sel:DWORD src1_sel:WORD_1
	v_fma_f16 v91, v1, v59, v2
	v_mul_f16_sdwa v1, v1, v59 dst_sel:DWORD dst_unused:UNUSED_PAD src0_sel:DWORD src1_sel:WORD_1
	v_fma_f16 v59, v0, v59, -v1
	v_lshrrev_b32_e32 v0, 16, v64
	v_mul_f16_sdwa v1, v0, v60 dst_sel:DWORD dst_unused:UNUSED_PAD src0_sel:DWORD src1_sel:WORD_1
	v_fma_f16 v92, v64, v60, v1
	v_mul_f16_sdwa v1, v64, v60 dst_sel:DWORD dst_unused:UNUSED_PAD src0_sel:DWORD src1_sel:WORD_1
	v_fma_f16 v60, v0, v60, -v1
	ds_read2_b32 v[0:1], v25 offset1:96
	v_lshrrev_b32_e32 v2, 16, v3
	v_mul_f16_sdwa v4, v2, v61 dst_sel:DWORD dst_unused:UNUSED_PAD src0_sel:DWORD src1_sel:WORD_1
	v_fma_f16 v64, v3, v61, v4
	v_mul_f16_sdwa v3, v3, v61 dst_sel:DWORD dst_unused:UNUSED_PAD src0_sel:DWORD src1_sel:WORD_1
	v_fma_f16 v61, v2, v61, -v3
	s_waitcnt lgkmcnt(0)
	v_lshrrev_b32_e32 v2, 16, v0
	v_mul_f16_sdwa v3, v0, v62 dst_sel:DWORD dst_unused:UNUSED_PAD src0_sel:DWORD src1_sel:WORD_1
	v_fma_f16 v93, v2, v62, -v3
	v_mul_f16_sdwa v2, v2, v62 dst_sel:DWORD dst_unused:UNUSED_PAD src0_sel:DWORD src1_sel:WORD_1
	v_fma_f16 v62, v0, v62, v2
	ds_read2_b32 v[2:3], v23 offset1:96
	v_lshrrev_b32_e32 v0, 16, v1
	v_mul_f16_sdwa v4, v0, v67 dst_sel:DWORD dst_unused:UNUSED_PAD src0_sel:DWORD src1_sel:WORD_1
	v_fma_f16 v4, v1, v67, v4
	v_mul_f16_sdwa v1, v1, v67 dst_sel:DWORD dst_unused:UNUSED_PAD src0_sel:DWORD src1_sel:WORD_1
	v_fma_f16 v0, v0, v67, -v1
	s_waitcnt lgkmcnt(0)
	v_lshrrev_b32_e32 v1, 16, v2
	v_add_f16_e32 v5, v1, v70
	v_add_f16_e32 v67, v5, v72
	;; [unrolled: 1-line block ×3, first 2 shown]
	v_fma_f16 v70, v5, -0.5, v1
	v_add_f16_e32 v1, v2, v71
	v_add_f16_e32 v5, v68, v73
	v_add_f16_e32 v72, v1, v75
	v_add_f16_e32 v1, v71, v75
	v_sub_f16_e32 v71, v71, v75
	v_add_f16_e32 v75, v5, v0
	v_sub_f16_e32 v95, v73, v0
	v_add_f16_e32 v0, v73, v0
	v_fma_f16 v68, v0, -0.5, v68
	v_add_f16_e32 v0, v65, v4
	v_fma_f16 v73, v0, -0.5, v69
	v_add_f16_e32 v0, v69, v65
	v_sub_f16_e32 v65, v65, v4
	v_add_f16_e32 v69, v0, v4
	v_fma_f16 v4, v65, s5, v68
	v_fma_f16 v0, v95, s6, v73
	v_mul_f16_e32 v5, 0xbaee, v4
	v_mul_f16_e32 v4, 0.5, v4
	v_fma_f16 v96, v0, 0.5, v5
	v_fma_f16 v97, v0, s5, v4
	v_mov_b32_e32 v0, 0x5a0
	v_fma_f16 v65, v65, s6, v68
	v_cndmask_b32_e32 v0, 0, v0, vcc
	v_lshlrev_b32_e32 v4, 2, v47
	v_fma_f16 v2, v1, -0.5, v2
	v_fma_f16 v100, v71, s5, v70
	v_fma_f16 v70, v71, s6, v70
	;; [unrolled: 1-line block ×3, first 2 shown]
	v_mul_f16_e32 v68, 0xbaee, v65
	v_mul_f16_e32 v65, -0.5, v65
	v_add3_u32 v47, 0, v0, v4
	v_add_f16_e32 v0, v72, v69
	v_add_f16_e32 v4, v67, v75
	v_fma_f16 v99, v94, s6, v2
	v_fma_f16 v2, v94, s5, v2
	v_fma_f16 v68, v71, -0.5, v68
	v_fma_f16 v65, v71, s5, v65
	v_pack_b32_f16 v98, v0, v4
	v_add_f16_e32 v0, v99, v96
	v_add_f16_e32 v1, v100, v97
	v_sub_f16_e32 v69, v72, v69
	v_sub_f16_e32 v67, v67, v75
	v_add_f16_e32 v71, v2, v68
	v_add_f16_e32 v72, v70, v65
	v_pack_b32_f16 v101, v0, v1
	ds_read2_b32 v[0:1], v34 offset0:64 offset1:160
	ds_read2_b32 v[4:5], v37 offset0:64 offset1:160
	;; [unrolled: 1-line block ×3, first 2 shown]
	v_pack_b32_f16 v71, v71, v72
	v_pack_b32_f16 v67, v69, v67
	s_waitcnt vmcnt(0) lgkmcnt(0)
	s_barrier
	ds_write2_b32 v47, v71, v67 offset0:120 offset1:180
	v_sub_f16_e32 v67, v99, v96
	v_sub_f16_e32 v2, v2, v68
	;; [unrolled: 1-line block ×4, first 2 shown]
	ds_write2_b32 v47, v98, v101 offset1:60
	v_pack_b32_f16 v67, v67, v68
	v_pack_b32_f16 v2, v2, v65
	v_add_u32_e32 v47, 0x200, v47
	ds_write2_b32 v47, v67, v2 offset0:112 offset1:172
	v_lshrrev_b32_e32 v2, 16, v0
	v_mul_f16_sdwa v47, v0, v49 dst_sel:DWORD dst_unused:UNUSED_PAD src0_sel:DWORD src1_sel:WORD_1
	v_fma_f16 v47, v2, v49, -v47
	v_mul_f16_sdwa v2, v2, v49 dst_sel:DWORD dst_unused:UNUSED_PAD src0_sel:DWORD src1_sel:WORD_1
	v_fma_f16 v0, v0, v49, v2
	v_add_f16_e32 v68, v79, v80
	v_add_f16_e32 v70, v51, v0
	;; [unrolled: 1-line block ×3, first 2 shown]
	v_lshrrev_b32_e32 v49, 16, v3
	v_add_f16_e32 v68, v68, v47
	v_sub_f16_e32 v69, v80, v47
	v_add_f16_e32 v47, v80, v47
	v_fma_f16 v70, v70, -0.5, v53
	v_add_f16_e32 v53, v53, v51
	v_fma_f16 v2, v2, -0.5, v3
	v_add_f16_e32 v3, v3, v76
	v_add_f16_e32 v65, v49, v63
	v_fma_f16 v47, v47, -0.5, v79
	v_add_f16_e32 v53, v53, v0
	v_sub_f16_e32 v0, v51, v0
	v_add_f16_e32 v65, v65, v78
	v_sub_f16_e32 v67, v63, v78
	v_add_f16_e32 v63, v63, v78
	v_add_f16_e32 v3, v3, v77
	v_fma_f16 v71, v0, s5, v47
	v_fma_f16 v49, v63, -0.5, v49
	v_sub_f16_e32 v63, v76, v77
	v_fma_f16 v51, v69, s6, v70
	v_mul_f16_e32 v72, 0xbaee, v71
	v_mul_f16_e32 v71, 0.5, v71
	v_add_f16_e32 v45, v3, v53
	v_add_f16_e32 v46, v65, v68
	v_fma_f16 v72, v51, 0.5, v72
	v_fma_f16 v51, v51, s5, v71
	v_pack_b32_f16 v45, v45, v46
	v_fma_f16 v46, v67, s6, v2
	v_fma_f16 v71, v63, s5, v49
	v_add_f16_e32 v73, v46, v72
	v_add_f16_e32 v75, v71, v51
	v_pack_b32_f16 v73, v73, v75
	v_fma_f16 v0, v0, s6, v47
	ds_write2_b32 v40, v45, v73 offset1:60
	v_fma_f16 v45, v63, s6, v49
	v_fma_f16 v49, v69, s5, v70
	v_mul_f16_e32 v47, 0xbaee, v0
	v_mul_f16_e32 v0, -0.5, v0
	v_fma_f16 v2, v67, s5, v2
	v_fma_f16 v47, v49, -0.5, v47
	v_fma_f16 v0, v49, s5, v0
	v_sub_f16_e32 v3, v3, v53
	v_sub_f16_e32 v49, v65, v68
	v_add_f16_e32 v53, v2, v47
	v_add_f16_e32 v63, v45, v0
	v_pack_b32_f16 v53, v53, v63
	v_pack_b32_f16 v3, v3, v49
	ds_write2_b32 v40, v53, v3 offset0:120 offset1:180
	v_sub_f16_e32 v3, v46, v72
	v_sub_f16_e32 v2, v2, v47
	;; [unrolled: 1-line block ×4, first 2 shown]
	v_pack_b32_f16 v3, v3, v46
	v_pack_b32_f16 v0, v2, v0
	v_add_u32_e32 v2, 0x200, v40
	ds_write2_b32 v2, v3, v0 offset0:112 offset1:172
	v_lshrrev_b32_e32 v0, 16, v1
	v_mul_f16_sdwa v2, v0, v50 dst_sel:DWORD dst_unused:UNUSED_PAD src0_sel:DWORD src1_sel:WORD_1
	v_fma_f16 v2, v1, v50, v2
	v_mul_f16_sdwa v1, v1, v50 dst_sel:DWORD dst_unused:UNUSED_PAD src0_sel:DWORD src1_sel:WORD_1
	v_fma_f16 v0, v0, v50, -v1
	v_add_f16_e32 v49, v54, v52
	v_add_f16_e32 v49, v49, v0
	v_sub_f16_e32 v50, v52, v0
	v_add_f16_e32 v0, v52, v0
	v_add_f16_e32 v52, v81, v82
	v_lshrrev_b32_e32 v1, 16, v4
	v_add_f16_e32 v45, v83, v85
	v_fma_f16 v0, v0, -0.5, v54
	v_add_f16_e32 v51, v82, v2
	v_add_f16_e32 v52, v52, v2
	v_sub_f16_e32 v2, v82, v2
	v_add_f16_e32 v3, v1, v83
	v_fma_f16 v1, v45, -0.5, v1
	v_add_f16_e32 v45, v4, v84
	v_fma_f16 v51, v51, -0.5, v81
	v_fma_f16 v54, v2, s5, v0
	v_add_f16_e32 v3, v3, v85
	v_add_f16_e32 v45, v45, v86
	;; [unrolled: 1-line block ×3, first 2 shown]
	v_fma_f16 v53, v50, s6, v51
	v_mul_f16_e32 v63, 0xbaee, v54
	v_mul_f16_e32 v54, 0.5, v54
	v_sub_f16_e32 v40, v83, v85
	v_sub_f16_e32 v47, v84, v86
	v_fma_f16 v63, v53, 0.5, v63
	v_fma_f16 v53, v53, s5, v54
	v_add_f16_e32 v42, v45, v52
	v_add_f16_e32 v54, v3, v49
	v_fma_f16 v4, v46, -0.5, v4
	v_pack_b32_f16 v42, v42, v54
	v_fma_f16 v46, v40, s6, v4
	v_fma_f16 v54, v47, s5, v1
	;; [unrolled: 1-line block ×3, first 2 shown]
	v_add_f16_e32 v65, v46, v63
	v_add_f16_e32 v67, v54, v53
	v_fma_f16 v4, v40, s5, v4
	v_fma_f16 v40, v50, s5, v51
	v_mul_f16_e32 v2, 0xbaee, v0
	v_mul_f16_e32 v0, -0.5, v0
	v_pack_b32_f16 v65, v65, v67
	v_fma_f16 v1, v47, s6, v1
	v_fma_f16 v2, v40, -0.5, v2
	v_fma_f16 v0, v40, s5, v0
	ds_write2_b32 v41, v42, v65 offset1:60
	v_sub_f16_e32 v40, v45, v52
	v_sub_f16_e32 v3, v3, v49
	v_add_f16_e32 v42, v4, v2
	v_add_f16_e32 v45, v1, v0
	v_pack_b32_f16 v42, v42, v45
	v_pack_b32_f16 v3, v40, v3
	ds_write2_b32 v41, v42, v3 offset0:120 offset1:180
	v_sub_f16_e32 v3, v46, v63
	v_sub_f16_e32 v2, v4, v2
	;; [unrolled: 1-line block ×4, first 2 shown]
	v_pack_b32_f16 v1, v3, v4
	v_pack_b32_f16 v0, v2, v0
	v_add_u32_e32 v2, 0x200, v41
	ds_write2_b32 v2, v1, v0 offset0:112 offset1:172
	v_lshrrev_b32_e32 v0, 16, v6
	v_mul_f16_sdwa v1, v6, v66 dst_sel:DWORD dst_unused:UNUSED_PAD src0_sel:DWORD src1_sel:WORD_1
	v_fma_f16 v1, v0, v66, -v1
	v_mul_f16_sdwa v0, v0, v66 dst_sel:DWORD dst_unused:UNUSED_PAD src0_sel:DWORD src1_sel:WORD_1
	v_add_f16_e32 v41, v89, v90
	v_fma_f16 v0, v6, v66, v0
	v_add_f16_e32 v41, v41, v1
	v_sub_f16_e32 v42, v90, v1
	v_add_f16_e32 v1, v90, v1
	v_add_f16_e32 v46, v55, v57
	;; [unrolled: 1-line block ×3, first 2 shown]
	v_lshrrev_b32_e32 v3, 16, v5
	v_fma_f16 v1, v1, -0.5, v89
	v_add_f16_e32 v45, v57, v0
	v_add_f16_e32 v46, v46, v0
	v_sub_f16_e32 v0, v57, v0
	v_fma_f16 v2, v2, -0.5, v5
	v_add_f16_e32 v4, v5, v87
	v_add_f16_e32 v5, v3, v56
	v_fma_f16 v45, v45, -0.5, v55
	v_fma_f16 v49, v0, s5, v1
	v_add_f16_e32 v5, v5, v58
	v_add_f16_e32 v4, v4, v88
	v_fma_f16 v47, v42, s6, v45
	v_mul_f16_e32 v50, 0xbaee, v49
	v_mul_f16_e32 v49, 0.5, v49
	v_sub_f16_e32 v6, v56, v58
	v_add_f16_e32 v40, v56, v58
	v_fma_f16 v50, v47, 0.5, v50
	v_fma_f16 v47, v47, s5, v49
	v_add_f16_e32 v48, v4, v46
	v_add_f16_e32 v49, v5, v41
	v_fma_f16 v0, v0, s6, v1
	v_fma_f16 v3, v40, -0.5, v3
	v_sub_f16_e32 v40, v87, v88
	v_pack_b32_f16 v48, v48, v49
	v_fma_f16 v49, v6, s6, v2
	v_fma_f16 v2, v6, s5, v2
	;; [unrolled: 1-line block ×3, first 2 shown]
	v_mul_f16_e32 v1, 0xbaee, v0
	v_mul_f16_e32 v0, -0.5, v0
	v_fma_f16 v51, v40, s5, v3
	v_fma_f16 v3, v40, s6, v3
	v_fma_f16 v1, v6, -0.5, v1
	v_fma_f16 v0, v6, s5, v0
	v_sub_f16_e32 v4, v4, v46
	v_sub_f16_e32 v5, v5, v41
	v_add_f16_e32 v6, v2, v1
	v_add_f16_e32 v40, v3, v0
	v_pack_b32_f16 v6, v6, v40
	v_pack_b32_f16 v4, v4, v5
	ds_write2_b32 v43, v6, v4 offset0:120 offset1:180
	v_sub_f16_e32 v4, v49, v50
	v_sub_f16_e32 v1, v2, v1
	;; [unrolled: 1-line block ×4, first 2 shown]
	v_pack_b32_f16 v2, v4, v2
	v_pack_b32_f16 v0, v1, v0
	v_add_u32_e32 v1, 0x200, v43
	ds_write2_b32 v1, v2, v0 offset0:112 offset1:172
	v_lshrrev_b32_e32 v0, 16, v7
	v_mul_f16_sdwa v2, v7, v74 dst_sel:DWORD dst_unused:UNUSED_PAD src0_sel:DWORD src1_sel:WORD_1
	v_mul_f16_sdwa v1, v0, v74 dst_sel:DWORD dst_unused:UNUSED_PAD src0_sel:DWORD src1_sel:WORD_1
	v_fma_f16 v0, v0, v74, -v2
	v_add_f16_e32 v2, v92, v62
	v_fma_f16 v2, v2, -0.5, v21
	v_lshrrev_b32_e32 v3, 16, v21
	v_add_f16_e32 v4, v21, v92
	v_add_f16_e32 v21, v59, v61
	v_fma_f16 v1, v7, v74, v1
	v_add_f16_e32 v21, v21, v0
	v_sub_f16_e32 v40, v61, v0
	v_add_f16_e32 v0, v61, v0
	v_add_f16_e32 v42, v91, v64
	;; [unrolled: 1-line block ×4, first 2 shown]
	v_fma_f16 v0, v0, -0.5, v59
	v_add_f16_e32 v41, v64, v1
	v_add_f16_e32 v42, v42, v1
	v_sub_f16_e32 v1, v64, v1
	v_pack_b32_f16 v52, v52, v53
	v_add_f16_e32 v5, v3, v60
	v_fma_f16 v41, v41, -0.5, v91
	v_fma_f16 v45, v1, s5, v0
	ds_write2_b32 v43, v48, v52 offset1:60
	v_add_f16_e32 v5, v5, v93
	v_add_f16_e32 v4, v4, v62
	v_fma_f16 v43, v40, s6, v41
	v_mul_f16_e32 v46, 0xbaee, v45
	v_mul_f16_e32 v45, 0.5, v45
	v_mul_u32_u24_e32 v22, 0x5a0, v22
	v_lshlrev_b32_e32 v44, 2, v44
	v_sub_f16_e32 v6, v60, v93
	v_add_f16_e32 v7, v60, v93
	v_fma_f16 v46, v43, 0.5, v46
	v_fma_f16 v43, v43, s5, v45
	v_add3_u32 v22, 0, v22, v44
	v_add_f16_e32 v44, v4, v42
	v_add_f16_e32 v45, v5, v21
	v_fma_f16 v0, v1, s6, v0
	v_fma_f16 v3, v7, -0.5, v3
	v_sub_f16_e32 v7, v92, v62
	v_pack_b32_f16 v44, v44, v45
	v_fma_f16 v45, v6, s6, v2
	v_fma_f16 v2, v6, s5, v2
	;; [unrolled: 1-line block ×3, first 2 shown]
	v_mul_f16_e32 v1, 0xbaee, v0
	v_mul_f16_e32 v0, -0.5, v0
	v_fma_f16 v47, v7, s5, v3
	v_fma_f16 v3, v7, s6, v3
	v_fma_f16 v1, v6, -0.5, v1
	v_fma_f16 v0, v6, s5, v0
	v_sub_f16_e32 v4, v4, v42
	v_sub_f16_e32 v5, v5, v21
	v_add_f16_e32 v6, v2, v1
	v_add_f16_e32 v7, v3, v0
	v_pack_b32_f16 v6, v6, v7
	v_pack_b32_f16 v4, v4, v5
	ds_write2_b32 v22, v6, v4 offset0:120 offset1:180
	v_sub_f16_e32 v4, v45, v46
	v_sub_f16_e32 v1, v2, v1
	v_sub_f16_e32 v2, v47, v43
	v_sub_f16_e32 v0, v3, v0
	v_pack_b32_f16 v2, v4, v2
	v_pack_b32_f16 v0, v1, v0
	v_add_u32_e32 v1, 0x200, v22
	ds_write2_b32 v1, v2, v0 offset0:112 offset1:172
	v_add_co_u32_e32 v0, vcc, s12, v18
	s_movk_i32 s5, 0x2d83
	v_add_u32_e32 v6, 0x2a0, v10
	v_addc_co_u32_e32 v1, vcc, v39, v19, vcc
	v_mul_u32_u24_sdwa v2, v6, s5 dst_sel:DWORD dst_unused:UNUSED_PAD src0_sel:WORD_0 src1_sel:DWORD
	s_movk_i32 s6, 0x48
	v_add_f16_e32 v48, v45, v46
	v_lshrrev_b32_e32 v46, 22, v2
	v_add_u32_e32 v2, 0xffffffb8, v10
	v_cmp_gt_u32_e32 vcc, s6, v10
	v_cndmask_b32_e32 v4, v2, v38, vcc
	v_mov_b32_e32 v5, v11
	v_lshlrev_b64 v[2:3], 2, v[4:5]
	v_add_f16_e32 v49, v47, v43
	v_add_co_u32_e32 v2, vcc, s12, v2
	v_pack_b32_f16 v48, v48, v49
	v_addc_co_u32_e32 v3, vcc, v39, v3, vcc
	ds_write2_b32 v22, v44, v48 offset1:60
	s_waitcnt lgkmcnt(0)
	s_barrier
	global_load_dword v7, v[0:1], off offset:1784
	global_load_dword v21, v[0:1], off offset:2264
	;; [unrolled: 1-line block ×5, first 2 shown]
	v_add_u32_e32 v2, 0x4e0, v10
	v_mul_u32_u24_sdwa v3, v2, s5 dst_sel:DWORD dst_unused:UNUSED_PAD src0_sel:WORD_0 src1_sel:DWORD
	v_lshrrev_b32_e32 v3, 22, v3
	v_mul_lo_u16_e32 v3, 0x168, v3
	v_sub_u16_e32 v2, v2, v3
	v_add_u32_e32 v3, 0x540, v10
	v_mul_u32_u24_sdwa v18, v3, s5 dst_sel:DWORD dst_unused:UNUSED_PAD src0_sel:WORD_0 src1_sel:DWORD
	v_lshrrev_b32_e32 v18, 22, v18
	v_mul_lo_u16_e32 v18, 0x168, v18
	v_sub_u16_e32 v3, v3, v18
	v_lshlrev_b32_e32 v47, 2, v3
	v_lshlrev_b32_e32 v48, 2, v2
	v_mul_u32_u24_sdwa v2, v20, s5 dst_sel:DWORD dst_unused:UNUSED_PAD src0_sel:WORD_0 src1_sel:DWORD
	v_add_u32_e32 v3, 0x420, v10
	v_lshrrev_b32_e32 v2, 22, v2
	v_mul_u32_u24_sdwa v18, v3, s5 dst_sel:DWORD dst_unused:UNUSED_PAD src0_sel:WORD_0 src1_sel:DWORD
	v_mul_lo_u16_e32 v2, 0x168, v2
	v_lshrrev_b32_e32 v49, 22, v18
	v_sub_u16_e32 v2, v20, v2
	v_mul_lo_u16_e32 v18, 0x168, v49
	v_sub_u16_e32 v3, v3, v18
	v_lshlrev_b32_e32 v50, 2, v2
	v_add_u32_e32 v2, 0x360, v10
	v_lshlrev_b32_e32 v51, 2, v3
	v_mul_u32_u24_sdwa v3, v2, s5 dst_sel:DWORD dst_unused:UNUSED_PAD src0_sel:WORD_0 src1_sel:DWORD
	v_lshrrev_b32_e32 v3, 22, v3
	global_load_dword v20, v47, s[12:13] offset:1400
	global_load_dword v40, v48, s[12:13] offset:1400
	;; [unrolled: 1-line block ×4, first 2 shown]
	v_mul_lo_u16_e32 v3, 0x168, v3
	v_sub_u16_e32 v2, v2, v3
	v_add_u32_e32 v3, 0x3c0, v10
	v_mul_u32_u24_sdwa v18, v3, s5 dst_sel:DWORD dst_unused:UNUSED_PAD src0_sel:WORD_0 src1_sel:DWORD
	v_lshrrev_b32_e32 v18, 22, v18
	v_mul_lo_u16_e32 v18, 0x168, v18
	v_sub_u16_e32 v3, v3, v18
	v_lshlrev_b32_e32 v53, 2, v2
	v_or_b32_e32 v2, 0x300, v10
	v_lshlrev_b32_e32 v52, 2, v3
	global_load_dword v43, v52, s[12:13] offset:1400
	global_load_dword v44, v53, s[12:13] offset:1400
	v_mul_u32_u24_sdwa v3, v2, s5 dst_sel:DWORD dst_unused:UNUSED_PAD src0_sel:WORD_0 src1_sel:DWORD
	v_lshrrev_b32_e32 v3, 22, v3
	v_mul_lo_u16_e32 v3, 0x168, v3
	v_sub_u16_e32 v2, v2, v3
	v_lshlrev_b32_e32 v54, 2, v2
	global_load_dword v45, v54, s[12:13] offset:1400
	v_mul_lo_u16_e32 v2, 0x168, v46
	v_sub_u16_e32 v2, v6, v2
	v_lshlrev_b32_e32 v55, 2, v2
	global_load_dword v56, v55, s[12:13] offset:1400
	global_load_dword v57, v[0:1], off offset:1496
	v_add_co_u32_e32 v2, vcc, s12, v16
	v_addc_co_u32_e32 v3, vcc, v39, v17, vcc
	global_load_dword v58, v[2:3], off offset:1400
	ds_read2_b32 v[16:17], v31 offset1:96
	ds_read2_b32 v[18:19], v36 offset0:128 offset1:224
	s_mov_b32 s5, 0xffff
	s_movk_i32 s6, 0x47
	v_cmp_lt_u32_e32 vcc, s6, v10
	v_lshlrev_b32_e32 v4, 2, v4
	s_waitcnt vmcnt(14) lgkmcnt(1)
	v_pk_mul_f16 v59, v7, v16 op_sel:[0,1]
	v_pk_fma_f16 v60, v7, v16, v59 op_sel:[0,0,1] op_sel_hi:[1,1,0]
	v_pk_fma_f16 v7, v7, v16, v59 op_sel:[0,0,1] op_sel_hi:[1,0,0] neg_lo:[1,0,0] neg_hi:[1,0,0]
	s_waitcnt vmcnt(11)
	v_pk_mul_f16 v16, v17, v22 op_sel:[0,1]
	v_pk_fma_f16 v59, v17, v22, v16 op_sel:[0,0,1] op_sel_hi:[1,1,0]
	v_pk_fma_f16 v61, v17, v22, v16 op_sel:[0,0,1] op_sel_hi:[1,0,0] neg_lo:[0,0,1] neg_hi:[0,0,1]
	ds_read2_b32 v[16:17], v29 offset0:128 offset1:224
	s_waitcnt vmcnt(10) lgkmcnt(1)
	v_pk_mul_f16 v22, v18, v38 op_sel:[0,1]
	v_pk_fma_f16 v62, v18, v38, v22 op_sel:[0,0,1] op_sel_hi:[1,1,0]
	v_pk_fma_f16 v38, v18, v38, v22 op_sel:[0,0,1] op_sel_hi:[1,0,0] neg_lo:[0,0,1] neg_hi:[0,0,1]
	v_pk_mul_f16 v18, v19, v21 op_sel:[0,1]
	v_pk_fma_f16 v63, v19, v21, v18 op_sel:[0,0,1] op_sel_hi:[1,1,0]
	v_pk_fma_f16 v64, v19, v21, v18 op_sel:[0,0,1] op_sel_hi:[1,0,0] neg_lo:[0,0,1] neg_hi:[0,0,1]
	ds_read2_b32 v[18:19], v34 offset0:64 offset1:160
	v_bfi_b32 v7, s5, v60, v7
	v_bfi_b32 v59, s5, v59, v61
	s_waitcnt vmcnt(9) lgkmcnt(1)
	v_pk_mul_f16 v21, v17, v20 op_sel:[0,1]
	v_pk_fma_f16 v65, v17, v20, v21 op_sel:[0,0,1] op_sel_hi:[1,1,0]
	v_pk_fma_f16 v66, v17, v20, v21 op_sel:[0,0,1] op_sel_hi:[1,0,0] neg_lo:[0,0,1] neg_hi:[0,0,1]
	s_waitcnt vmcnt(8)
	v_pk_mul_f16 v17, v16, v40 op_sel:[0,1]
	v_pk_fma_f16 v67, v16, v40, v17 op_sel:[0,0,1] op_sel_hi:[1,1,0]
	v_pk_fma_f16 v68, v16, v40, v17 op_sel:[0,0,1] op_sel_hi:[1,0,0] neg_lo:[0,0,1] neg_hi:[0,0,1]
	ds_read2_b32 v[16:17], v25 offset1:96
	s_waitcnt vmcnt(7) lgkmcnt(1)
	v_pk_mul_f16 v20, v19, v41 op_sel:[0,1]
	v_pk_fma_f16 v69, v19, v41, v20 op_sel:[0,0,1] op_sel_hi:[1,1,0]
	v_pk_fma_f16 v70, v19, v41, v20 op_sel:[0,0,1] op_sel_hi:[1,0,0] neg_lo:[0,0,1] neg_hi:[0,0,1]
	s_waitcnt vmcnt(6)
	v_pk_mul_f16 v19, v18, v42 op_sel:[0,1]
	v_pk_fma_f16 v71, v18, v42, v19 op_sel:[0,0,1] op_sel_hi:[1,1,0]
	v_pk_fma_f16 v72, v18, v42, v19 op_sel:[0,0,1] op_sel_hi:[1,0,0] neg_lo:[0,0,1] neg_hi:[0,0,1]
	ds_read2_b32 v[18:19], v30 offset0:64 offset1:160
	s_waitcnt vmcnt(5) lgkmcnt(1)
	v_pk_mul_f16 v20, v17, v43 op_sel:[0,1]
	v_pk_fma_f16 v73, v17, v43, v20 op_sel:[0,0,1] op_sel_hi:[1,1,0]
	v_pk_fma_f16 v74, v17, v43, v20 op_sel:[0,0,1] op_sel_hi:[1,0,0] neg_lo:[0,0,1] neg_hi:[0,0,1]
	s_waitcnt vmcnt(4)
	v_pk_mul_f16 v17, v16, v44 op_sel:[0,1]
	v_pk_fma_f16 v75, v16, v44, v17 op_sel:[0,0,1] op_sel_hi:[1,1,0]
	v_pk_fma_f16 v76, v16, v44, v17 op_sel:[0,0,1] op_sel_hi:[1,0,0] neg_lo:[0,0,1] neg_hi:[0,0,1]
	ds_read2_b32 v[16:17], v27 offset0:64 offset1:160
	;; [unrolled: 9-line block ×3, first 2 shown]
	s_waitcnt vmcnt(1) lgkmcnt(1)
	v_pk_mul_f16 v20, v17, v57 op_sel:[0,1]
	v_pk_fma_f16 v80, v17, v57, v20 op_sel:[0,0,1] op_sel_hi:[1,1,0]
	v_pk_fma_f16 v57, v17, v57, v20 op_sel:[0,0,1] op_sel_hi:[1,0,0] neg_lo:[0,0,1] neg_hi:[0,0,1]
	v_pk_mul_f16 v17, v16, v5 op_sel:[0,1]
	v_pk_fma_f16 v81, v16, v5, v17 op_sel:[0,0,1] op_sel_hi:[1,1,0]
	v_pk_fma_f16 v5, v16, v5, v17 op_sel:[0,0,1] op_sel_hi:[1,0,0] neg_lo:[0,0,1] neg_hi:[0,0,1]
	ds_read2_b32 v[16:17], v23 offset1:96
	s_waitcnt vmcnt(0) lgkmcnt(1)
	v_pk_mul_f16 v20, v58, v19 op_sel:[0,1]
	v_pk_fma_f16 v21, v58, v19, v20 op_sel:[0,0,1] op_sel_hi:[1,1,0]
	v_pk_fma_f16 v19, v58, v19, v20 op_sel:[0,0,1] op_sel_hi:[1,0,0] neg_lo:[1,0,0] neg_hi:[1,0,0]
	v_bfi_b32 v19, s5, v21, v19
	s_waitcnt lgkmcnt(0)
	v_pk_add_f16 v58, v16, v19 neg_lo:[0,1] neg_hi:[0,1]
	v_pk_add_f16 v7, v17, v7 neg_lo:[0,1] neg_hi:[0,1]
	v_pk_fma_f16 v60, v16, 2.0, v58 op_sel_hi:[1,0,1] neg_lo:[0,0,1] neg_hi:[0,0,1]
	v_pk_fma_f16 v82, v17, 2.0, v7 op_sel_hi:[1,0,1] neg_lo:[0,0,1] neg_hi:[0,0,1]
	ds_read2_b32 v[16:17], v37 offset0:64 offset1:160
	ds_read2_b32 v[19:20], v32 offset0:128 offset1:224
	;; [unrolled: 1-line block ×3, first 2 shown]
	ds_read2_b32 v[40:41], v35 offset1:96
	ds_read2_b32 v[42:43], v28 offset0:64 offset1:160
	ds_read2_b32 v[44:45], v24 offset0:128 offset1:224
	s_waitcnt lgkmcnt(0)
	s_barrier
	ds_write2_b32 v23, v60, v82 offset1:96
	v_pk_add_f16 v59, v16, v59 neg_lo:[0,1] neg_hi:[0,1]
	v_add_u32_e32 v60, 0x600, v23
	ds_write2_b32 v60, v7, v59 offset0:72 offset1:168
	v_pk_fma_f16 v7, v16, 2.0, v59 op_sel_hi:[1,0,1] neg_lo:[0,0,1] neg_hi:[0,0,1]
	ds_write2_b32 v37, v7, v58 offset0:64 offset1:232
	v_mov_b32_e32 v7, 0xb40
	v_bfi_b32 v5, s5, v81, v5
	v_cndmask_b32_e32 v7, 0, v7, vcc
	v_pk_add_f16 v5, v17, v5 neg_lo:[0,1] neg_hi:[0,1]
	v_add3_u32 v4, 0, v7, v4
	v_pk_fma_f16 v7, v17, 2.0, v5 op_sel_hi:[1,0,1] neg_lo:[0,0,1] neg_hi:[0,0,1]
	ds_write_b32 v4, v7
	ds_write_b32 v4, v5 offset:1440
	v_bfi_b32 v4, s5, v80, v57
	v_bfi_b32 v5, s5, v62, v38
	v_pk_add_f16 v4, v19, v4 neg_lo:[0,1] neg_hi:[0,1]
	v_pk_add_f16 v5, v20, v5 neg_lo:[0,1] neg_hi:[0,1]
	v_pk_fma_f16 v7, v19, 2.0, v4 op_sel_hi:[1,0,1] neg_lo:[0,0,1] neg_hi:[0,0,1]
	v_pk_fma_f16 v16, v20, 2.0, v5 op_sel_hi:[1,0,1] neg_lo:[0,0,1] neg_hi:[0,0,1]
	v_add_u32_e32 v17, 0xa00, v23
	ds_write2_b32 v17, v7, v16 offset0:104 offset1:200
	v_bfi_b32 v7, s5, v63, v64
	v_pk_add_f16 v7, v21, v7 neg_lo:[0,1] neg_hi:[0,1]
	v_add_u32_e32 v38, 0x1200, v23
	v_pk_fma_f16 v16, v21, 2.0, v7 op_sel_hi:[1,0,1] neg_lo:[0,0,1] neg_hi:[0,0,1]
	ds_write2_b32 v38, v5, v7 offset0:48 offset1:144
	v_bfi_b32 v5, s5, v79, v56
	ds_write2_b32 v28, v16, v4 offset0:40 offset1:208
	v_mul_u32_u24_e32 v4, 0xb40, v46
	v_pk_add_f16 v5, v22, v5 neg_lo:[0,1] neg_hi:[0,1]
	v_add3_u32 v4, 0, v4, v55
	v_pk_fma_f16 v7, v22, 2.0, v5 op_sel_hi:[1,0,1] neg_lo:[0,0,1] neg_hi:[0,0,1]
	ds_write_b32 v4, v7
	ds_write_b32 v4, v5 offset:1440
	v_bfi_b32 v4, s5, v77, v78
	v_pk_add_f16 v4, v40, v4 neg_lo:[0,1] neg_hi:[0,1]
	v_add_u32_e32 v5, 0, v54
	v_pk_fma_f16 v7, v40, 2.0, v4 op_sel_hi:[1,0,1] neg_lo:[0,0,1] neg_hi:[0,0,1]
	ds_write_b32 v5, v7 offset:5760
	ds_write_b32 v5, v4 offset:7200
	v_bfi_b32 v4, s5, v75, v76
	v_pk_add_f16 v4, v41, v4 neg_lo:[0,1] neg_hi:[0,1]
	v_pk_fma_f16 v5, v41, 2.0, v4 op_sel_hi:[1,0,1] neg_lo:[0,0,1] neg_hi:[0,0,1]
	v_add_u32_e32 v7, 0, v53
	ds_write_b32 v7, v5 offset:5760
	ds_write_b32 v7, v4 offset:7200
	v_bfi_b32 v4, s5, v73, v74
	v_pk_add_f16 v4, v42, v4 neg_lo:[0,1] neg_hi:[0,1]
	v_add_u32_e32 v5, 0, v52
	v_pk_fma_f16 v7, v42, 2.0, v4 op_sel_hi:[1,0,1] neg_lo:[0,0,1] neg_hi:[0,0,1]
	ds_write_b32 v5, v7 offset:5760
	ds_write_b32 v5, v4 offset:7200
	v_bfi_b32 v5, s5, v71, v72
	v_mul_u32_u24_e32 v4, 0xb40, v49
	v_pk_add_f16 v5, v43, v5 neg_lo:[0,1] neg_hi:[0,1]
	v_add3_u32 v4, 0, v4, v51
	v_pk_fma_f16 v7, v43, 2.0, v5 op_sel_hi:[1,0,1] neg_lo:[0,0,1] neg_hi:[0,0,1]
	ds_write_b32 v4, v7
	ds_write_b32 v4, v5 offset:1440
	v_bfi_b32 v4, s5, v69, v70
	v_pk_add_f16 v4, v44, v4 neg_lo:[0,1] neg_hi:[0,1]
	v_add_u32_e32 v5, 0, v50
	v_pk_fma_f16 v7, v44, 2.0, v4 op_sel_hi:[1,0,1] neg_lo:[0,0,1] neg_hi:[0,0,1]
	ds_write_b32 v5, v7 offset:8640
	ds_write_b32 v5, v4 offset:10080
	v_bfi_b32 v4, s5, v67, v68
	v_pk_add_f16 v4, v45, v4 neg_lo:[0,1] neg_hi:[0,1]
	v_pk_fma_f16 v5, v45, 2.0, v4 op_sel_hi:[1,0,1] neg_lo:[0,0,1] neg_hi:[0,0,1]
	v_add_u32_e32 v7, 0, v48
	ds_write_b32 v7, v5 offset:8640
	ds_write_b32 v7, v4 offset:10080
	v_bfi_b32 v4, s5, v65, v66
	v_pk_add_f16 v4, v18, v4 neg_lo:[0,1] neg_hi:[0,1]
	v_pk_fma_f16 v5, v18, 2.0, v4 op_sel_hi:[1,0,1] neg_lo:[0,0,1] neg_hi:[0,0,1]
	v_add_u32_e32 v7, 0, v47
	ds_write_b32 v7, v5 offset:8640
	ds_write_b32 v7, v4 offset:10080
	v_add_co_u32_e32 v4, vcc, s4, v0
	v_addc_co_u32_e32 v5, vcc, 0, v1, vcc
	s_waitcnt lgkmcnt(0)
	s_barrier
	global_load_dword v18, v[4:5], off offset:664
	global_load_dword v20, v[4:5], off offset:1048
	;; [unrolled: 1-line block ×5, first 2 shown]
	v_subrev_u32_e32 v7, 48, v10
	v_cmp_gt_u32_e32 vcc, 48, v10
	v_cndmask_b32_e32 v6, v7, v6, vcc
	v_mov_b32_e32 v7, v11
	v_lshlrev_b64 v[16:17], 2, v[6:7]
	global_load_dword v7, v[4:5], off offset:280
	v_add_co_u32_e32 v16, vcc, s12, v16
	v_addc_co_u32_e32 v17, vcc, v39, v17, vcc
	global_load_dword v64, v[16:17], off offset:2840
	global_load_dword v65, v[4:5], off offset:88
	;; [unrolled: 1-line block ×6, first 2 shown]
	ds_read2_b32 v[16:17], v36 offset0:128 offset1:224
	global_load_dword v70, v[4:5], off offset:1240
	global_load_dword v71, v[4:5], off offset:856
	;; [unrolled: 1-line block ×3, first 2 shown]
	v_cmp_lt_u32_e32 vcc, 47, v10
	v_lshlrev_b32_e32 v6, 2, v6
	s_movk_i32 s5, 0x2000
	s_waitcnt lgkmcnt(0)
	v_lshrrev_b32_e32 v19, 16, v16
	v_lshrrev_b32_e32 v41, 16, v17
	s_waitcnt vmcnt(14)
	v_mul_f16_sdwa v21, v16, v18 dst_sel:DWORD dst_unused:UNUSED_PAD src0_sel:DWORD src1_sel:WORD_1
	v_fma_f16 v21, v19, v18, -v21
	v_mul_f16_sdwa v19, v19, v18 dst_sel:DWORD dst_unused:UNUSED_PAD src0_sel:DWORD src1_sel:WORD_1
	v_fma_f16 v40, v16, v18, v19
	s_waitcnt vmcnt(13)
	v_mul_f16_sdwa v16, v41, v20 dst_sel:DWORD dst_unused:UNUSED_PAD src0_sel:DWORD src1_sel:WORD_1
	ds_read2_b32 v[18:19], v32 offset0:128 offset1:224
	v_fma_f16 v42, v17, v20, v16
	v_mul_f16_sdwa v43, v17, v20 dst_sel:DWORD dst_unused:UNUSED_PAD src0_sel:DWORD src1_sel:WORD_1
	ds_read2_b32 v[16:17], v26 offset0:64 offset1:160
	v_fma_f16 v20, v41, v20, -v43
	s_waitcnt lgkmcnt(1)
	v_lshrrev_b32_e32 v74, 16, v19
	v_sub_f16_e32 v73, v19, v40
	v_sub_f16_e32 v75, v74, v21
	s_waitcnt lgkmcnt(0)
	v_lshrrev_b32_e32 v77, 16, v16
	v_sub_f16_e32 v76, v16, v42
	v_sub_f16_e32 v78, v77, v20
	v_pack_b32_f16 v79, v73, v75
	v_pack_b32_f16 v80, v76, v78
	ds_read2_b32 v[20:21], v23 offset1:96
	ds_read2_b32 v[40:41], v33 offset0:64 offset1:160
	ds_read2_b32 v[42:43], v31 offset1:96
	ds_read2_b32 v[44:45], v37 offset0:64 offset1:160
	ds_read2_b32 v[46:47], v27 offset0:64 offset1:160
	;; [unrolled: 1-line block ×3, first 2 shown]
	ds_read2_b32 v[50:51], v35 offset1:96
	ds_read2_b32 v[52:53], v25 offset1:96
	ds_read2_b32 v[54:55], v28 offset0:64 offset1:160
	ds_read2_b32 v[56:57], v34 offset0:64 offset1:160
	;; [unrolled: 1-line block ×4, first 2 shown]
	s_waitcnt vmcnt(0) lgkmcnt(0)
	s_barrier
	ds_write2_b32 v38, v79, v80 offset0:48 offset1:144
	v_lshrrev_b32_e32 v38, 16, v42
	v_mul_f16_sdwa v79, v22, v42 dst_sel:DWORD dst_unused:UNUSED_PAD src0_sel:WORD_1 src1_sel:DWORD
	v_fma_f16 v79, v22, v38, -v79
	v_mul_f16_sdwa v38, v22, v38 dst_sel:DWORD dst_unused:UNUSED_PAD src0_sel:WORD_1 src1_sel:DWORD
	v_fma_f16 v22, v22, v42, v38
	v_lshrrev_b32_e32 v38, 16, v43
	v_mul_f16_sdwa v42, v62, v38 dst_sel:DWORD dst_unused:UNUSED_PAD src0_sel:WORD_1 src1_sel:DWORD
	v_fma_f16 v42, v62, v43, v42
	v_mul_f16_sdwa v43, v62, v43 dst_sel:DWORD dst_unused:UNUSED_PAD src0_sel:WORD_1 src1_sel:DWORD
	v_fma_f16 v38, v62, v38, -v43
	v_lshrrev_b32_e32 v43, 16, v46
	v_mul_f16_sdwa v62, v46, v63 dst_sel:DWORD dst_unused:UNUSED_PAD src0_sel:DWORD src1_sel:WORD_1
	v_fma_f16 v62, v43, v63, -v62
	v_mul_f16_sdwa v43, v43, v63 dst_sel:DWORD dst_unused:UNUSED_PAD src0_sel:DWORD src1_sel:WORD_1
	v_fma_f16 v43, v46, v63, v43
	v_lshrrev_b32_e32 v46, 16, v47
	v_mul_f16_sdwa v63, v46, v7 dst_sel:DWORD dst_unused:UNUSED_PAD src0_sel:DWORD src1_sel:WORD_1
	v_fma_f16 v63, v47, v7, v63
	v_mul_f16_sdwa v47, v47, v7 dst_sel:DWORD dst_unused:UNUSED_PAD src0_sel:DWORD src1_sel:WORD_1
	v_fma_f16 v7, v46, v7, -v47
	v_lshrrev_b32_e32 v46, 16, v48
	v_mul_f16_sdwa v47, v48, v64 dst_sel:DWORD dst_unused:UNUSED_PAD src0_sel:DWORD src1_sel:WORD_1
	v_fma_f16 v47, v46, v64, -v47
	v_mul_f16_sdwa v46, v46, v64 dst_sel:DWORD dst_unused:UNUSED_PAD src0_sel:DWORD src1_sel:WORD_1
	v_fma_f16 v46, v48, v64, v46
	v_lshrrev_b32_e32 v48, 16, v49
	v_mul_f16_sdwa v64, v48, v68 dst_sel:DWORD dst_unused:UNUSED_PAD src0_sel:DWORD src1_sel:WORD_1
	v_fma_f16 v64, v49, v68, v64
	v_mul_f16_sdwa v49, v49, v68 dst_sel:DWORD dst_unused:UNUSED_PAD src0_sel:DWORD src1_sel:WORD_1
	v_fma_f16 v48, v48, v68, -v49
	v_lshrrev_b32_e32 v49, 16, v41
	v_mul_f16_sdwa v68, v69, v41 dst_sel:DWORD dst_unused:UNUSED_PAD src0_sel:WORD_1 src1_sel:DWORD
	v_fma_f16 v68, v69, v49, -v68
	v_mul_f16_sdwa v49, v69, v49 dst_sel:DWORD dst_unused:UNUSED_PAD src0_sel:WORD_1 src1_sel:DWORD
	v_fma_f16 v41, v69, v41, v49
	v_lshrrev_b32_e32 v49, 16, v20
	v_sub_f16_e32 v41, v20, v41
	v_sub_f16_e32 v68, v49, v68
	v_lshrrev_b32_e32 v69, 16, v21
	v_fma_f16 v20, v20, 2.0, -v41
	v_fma_f16 v49, v49, 2.0, -v68
	v_sub_f16_e32 v22, v21, v22
	v_pack_b32_f16 v20, v20, v49
	v_sub_f16_e32 v49, v69, v79
	v_fma_f16 v21, v21, 2.0, -v22
	v_fma_f16 v69, v69, 2.0, -v49
	v_pack_b32_f16 v21, v21, v69
	ds_write2_b32 v23, v20, v21 offset1:96
	v_pack_b32_f16 v20, v22, v49
	v_lshrrev_b32_e32 v22, 16, v44
	v_sub_f16_e32 v21, v44, v42
	v_sub_f16_e32 v38, v22, v38
	v_pack_b32_f16 v42, v21, v38
	ds_write2_b32 v35, v20, v42 offset0:48 offset1:144
	v_fma_f16 v20, v22, 2.0, -v38
	v_fma_f16 v21, v44, 2.0, -v21
	v_lshrrev_b32_e32 v38, 16, v45
	v_sub_f16_e32 v22, v45, v43
	v_pack_b32_f16 v20, v21, v20
	v_sub_f16_e32 v21, v38, v62
	v_fma_f16 v42, v45, 2.0, -v22
	v_fma_f16 v38, v38, 2.0, -v21
	v_pack_b32_f16 v38, v42, v38
	ds_write2_b32 v37, v20, v38 offset0:64 offset1:160
	v_lshrrev_b32_e32 v38, 16, v18
	v_sub_f16_e32 v20, v18, v63
	v_sub_f16_e32 v7, v38, v7
	v_fma_f16 v18, v18, 2.0, -v20
	v_pack_b32_f16 v21, v22, v21
	v_pack_b32_f16 v20, v20, v7
	v_fma_f16 v19, v19, 2.0, -v73
	ds_write2_b32 v28, v21, v20 offset0:112 offset1:208
	v_fma_f16 v7, v38, 2.0, -v7
	v_fma_f16 v20, v74, 2.0, -v75
	v_pack_b32_f16 v7, v18, v7
	v_pack_b32_f16 v18, v19, v20
	ds_write2_b32 v32, v7, v18 offset0:128 offset1:224
	v_fma_f16 v7, v77, 2.0, -v78
	v_fma_f16 v16, v16, 2.0, -v76
	v_pack_b32_f16 v18, v41, v68
	v_pack_b32_f16 v7, v16, v7
	ds_write2_b32 v26, v7, v18 offset0:64 offset1:208
	v_mov_b32_e32 v18, 0x1680
	v_lshrrev_b32_e32 v16, 16, v17
	v_cndmask_b32_e32 v18, 0, v18, vcc
	v_sub_f16_e32 v7, v17, v46
	v_add3_u32 v6, 0, v18, v6
	v_sub_f16_e32 v18, v16, v47
	v_fma_f16 v17, v17, 2.0, -v7
	v_fma_f16 v16, v16, 2.0, -v18
	v_pack_b32_f16 v16, v17, v16
	v_pack_b32_f16 v7, v7, v18
	ds_write_b32 v6, v16
	ds_write_b32 v6, v7 offset:2880
	v_lshrrev_b32_e32 v6, 16, v52
	v_mul_f16_sdwa v7, v52, v67 dst_sel:DWORD dst_unused:UNUSED_PAD src0_sel:DWORD src1_sel:WORD_1
	v_fma_f16 v7, v6, v67, -v7
	v_mul_f16_sdwa v6, v6, v67 dst_sel:DWORD dst_unused:UNUSED_PAD src0_sel:DWORD src1_sel:WORD_1
	v_fma_f16 v6, v52, v67, v6
	v_lshrrev_b32_e32 v17, 16, v50
	v_lshrrev_b32_e32 v18, 16, v51
	v_sub_f16_e32 v16, v50, v64
	v_sub_f16_e32 v6, v51, v6
	;; [unrolled: 1-line block ×4, first 2 shown]
	v_fma_f16 v19, v50, 2.0, -v16
	v_fma_f16 v20, v51, 2.0, -v6
	;; [unrolled: 1-line block ×4, first 2 shown]
	v_pack_b32_f16 v17, v19, v17
	v_pack_b32_f16 v18, v20, v18
	v_add_u32_e32 v19, 0x1600, v23
	ds_write2_b32 v19, v17, v18 offset0:80 offset1:176
	v_lshrrev_b32_e32 v17, 16, v53
	v_mul_f16_sdwa v18, v17, v66 dst_sel:DWORD dst_unused:UNUSED_PAD src0_sel:DWORD src1_sel:WORD_1
	v_fma_f16 v18, v53, v66, v18
	v_mul_f16_sdwa v19, v53, v66 dst_sel:DWORD dst_unused:UNUSED_PAD src0_sel:DWORD src1_sel:WORD_1
	v_fma_f16 v17, v17, v66, -v19
	v_pack_b32_f16 v6, v6, v7
	v_sub_f16_e32 v7, v54, v18
	v_lshrrev_b32_e32 v18, 16, v54
	v_lshrrev_b32_e32 v19, 16, v56
	v_mul_f16_sdwa v20, v56, v65 dst_sel:DWORD dst_unused:UNUSED_PAD src0_sel:DWORD src1_sel:WORD_1
	v_lshrrev_b32_e32 v43, 16, v61
	v_mul_f16_sdwa v45, v61, v70 dst_sel:DWORD dst_unused:UNUSED_PAD src0_sel:DWORD src1_sel:WORD_1
	v_sub_f16_e32 v17, v18, v17
	v_fma_f16 v20, v19, v65, -v20
	v_mul_f16_sdwa v19, v19, v65 dst_sel:DWORD dst_unused:UNUSED_PAD src0_sel:DWORD src1_sel:WORD_1
	v_mul_f16_sdwa v44, v43, v70 dst_sel:DWORD dst_unused:UNUSED_PAD src0_sel:DWORD src1_sel:WORD_1
	v_fma_f16 v43, v43, v70, -v45
	v_pack_b32_f16 v45, v7, v17
	v_fma_f16 v19, v56, v65, v19
	ds_write2_b32 v25, v6, v45 offset1:96
	v_fma_f16 v6, v18, 2.0, -v17
	v_fma_f16 v7, v54, 2.0, -v7
	v_lshrrev_b32_e32 v18, 16, v55
	v_sub_f16_e32 v17, v55, v19
	v_pack_b32_f16 v6, v7, v6
	v_sub_f16_e32 v7, v18, v20
	v_lshrrev_b32_e32 v22, 16, v57
	v_fma_f16 v19, v55, 2.0, -v17
	v_fma_f16 v18, v18, 2.0, -v7
	v_mul_f16_sdwa v38, v22, v72 dst_sel:DWORD dst_unused:UNUSED_PAD src0_sel:DWORD src1_sel:WORD_1
	v_mul_f16_sdwa v41, v57, v72 dst_sel:DWORD dst_unused:UNUSED_PAD src0_sel:DWORD src1_sel:WORD_1
	v_pack_b32_f16 v18, v19, v18
	v_fma_f16 v38, v57, v72, v38
	v_fma_f16 v22, v22, v72, -v41
	ds_write2_b32 v31, v6, v18 offset0:144 offset1:240
	v_pack_b32_f16 v6, v17, v7
	v_lshrrev_b32_e32 v17, 16, v58
	v_lshrrev_b32_e32 v41, 16, v60
	v_mul_f16_sdwa v42, v60, v71 dst_sel:DWORD dst_unused:UNUSED_PAD src0_sel:DWORD src1_sel:WORD_1
	v_sub_f16_e32 v7, v58, v38
	v_sub_f16_e32 v18, v17, v22
	v_fma_f16 v42, v41, v71, -v42
	v_mul_f16_sdwa v41, v41, v71 dst_sel:DWORD dst_unused:UNUSED_PAD src0_sel:DWORD src1_sel:WORD_1
	v_pack_b32_f16 v19, v7, v18
	v_fma_f16 v41, v60, v71, v41
	ds_write2_b32 v34, v6, v19 offset0:64 offset1:160
	v_fma_f16 v6, v17, 2.0, -v18
	v_fma_f16 v7, v58, 2.0, -v7
	v_lshrrev_b32_e32 v18, 16, v59
	v_sub_f16_e32 v17, v59, v41
	v_pack_b32_f16 v6, v7, v6
	v_sub_f16_e32 v7, v18, v42
	v_fma_f16 v19, v59, 2.0, -v17
	v_fma_f16 v18, v18, 2.0, -v7
	v_pack_b32_f16 v18, v19, v18
	v_fma_f16 v44, v61, v70, v44
	ds_write2_b32 v36, v6, v18 offset0:80 offset1:176
	v_lshrrev_b32_e32 v18, 16, v40
	v_sub_f16_e32 v6, v40, v44
	v_sub_f16_e32 v20, v18, v43
	v_fma_f16 v19, v40, 2.0, -v6
	v_fma_f16 v18, v18, 2.0, -v20
	v_add_co_u32_e32 v2, vcc, s4, v2
	v_pack_b32_f16 v16, v16, v21
	v_pack_b32_f16 v18, v19, v18
	;; [unrolled: 1-line block ×4, first 2 shown]
	v_addc_co_u32_e32 v3, vcc, 0, v3, vcc
	ds_write2_b32 v30, v18, v16 offset0:16 offset1:160
	ds_write2_b32 v29, v7, v6 offset0:128 offset1:224
	s_waitcnt lgkmcnt(0)
	s_barrier
	global_load_dword v6, v[2:3], off offset:1624
	global_load_dword v7, v[4:5], off offset:2008
	;; [unrolled: 1-line block ×4, first 2 shown]
	v_add_co_u32_e32 v0, vcc, s5, v0
	v_addc_co_u32_e32 v1, vcc, 0, v1, vcc
	ds_read2_b32 v[2:3], v33 offset0:64 offset1:160
	global_load_dword v49, v[4:5], off offset:3160
	global_load_dword v50, v[4:5], off offset:3544
	;; [unrolled: 1-line block ×4, first 2 shown]
	ds_read2_b32 v[4:5], v31 offset1:96
	v_add_co_u32_e32 v14, vcc, s12, v14
	s_waitcnt lgkmcnt(1)
	v_lshrrev_b32_e32 v16, 16, v3
	v_addc_co_u32_e32 v15, vcc, v39, v15, vcc
	s_waitcnt vmcnt(7)
	v_mul_f16_sdwa v17, v6, v3 dst_sel:DWORD dst_unused:UNUSED_PAD src0_sel:WORD_1 src1_sel:DWORD
	v_fma_f16 v17, v6, v16, -v17
	v_mul_f16_sdwa v16, v6, v16 dst_sel:DWORD dst_unused:UNUSED_PAD src0_sel:WORD_1 src1_sel:DWORD
	v_fma_f16 v16, v6, v3, v16
	s_waitcnt lgkmcnt(0)
	v_lshrrev_b32_e32 v3, 16, v4
	s_waitcnt vmcnt(6)
	v_mul_f16_sdwa v6, v7, v4 dst_sel:DWORD dst_unused:UNUSED_PAD src0_sel:WORD_1 src1_sel:DWORD
	v_fma_f16 v18, v7, v3, -v6
	v_mul_f16_sdwa v3, v7, v3 dst_sel:DWORD dst_unused:UNUSED_PAD src0_sel:WORD_1 src1_sel:DWORD
	v_fma_f16 v19, v7, v4, v3
	v_add_co_u32_e32 v3, vcc, s4, v14
	v_addc_co_u32_e32 v4, vcc, 0, v15, vcc
	ds_read2_b32 v[6:7], v23 offset1:96
	global_load_dword v53, v[0:1], off offset:600
	global_load_dword v54, v[0:1], off offset:984
	;; [unrolled: 1-line block ×7, first 2 shown]
	s_waitcnt lgkmcnt(0)
	v_lshrrev_b32_e32 v0, 16, v6
	v_sub_f16_e32 v60, v6, v16
	v_lshrrev_b32_e32 v1, 16, v7
	v_sub_f16_e32 v62, v0, v17
	v_sub_f16_e32 v61, v7, v19
	v_fma_f16 v3, v6, 2.0, -v60
	v_fma_f16 v0, v0, 2.0, -v62
	v_sub_f16_e32 v64, v1, v18
	v_fma_f16 v4, v7, 2.0, -v61
	v_pack_b32_f16 v63, v3, v0
	v_fma_f16 v0, v1, 2.0, -v64
	v_pack_b32_f16 v65, v4, v0
	ds_read2_b32 v[0:1], v37 offset0:64 offset1:160
	ds_read2_b32 v[3:4], v27 offset0:64 offset1:160
	;; [unrolled: 1-line block ×6, first 2 shown]
	ds_read2_b32 v[20:21], v35 offset1:96
	ds_read2_b32 v[38:39], v25 offset1:96
	ds_read2_b32 v[40:41], v28 offset0:64 offset1:160
	ds_read2_b32 v[42:43], v34 offset0:64 offset1:160
	;; [unrolled: 1-line block ×4, first 2 shown]
	s_waitcnt vmcnt(0) lgkmcnt(0)
	s_barrier
	ds_write2_b32 v23, v63, v65 offset1:96
	v_lshrrev_b32_e32 v23, 16, v5
	v_mul_f16_sdwa v63, v22, v23 dst_sel:DWORD dst_unused:UNUSED_PAD src0_sel:WORD_1 src1_sel:DWORD
	v_fma_f16 v63, v22, v5, v63
	v_mul_f16_sdwa v5, v22, v5 dst_sel:DWORD dst_unused:UNUSED_PAD src0_sel:WORD_1 src1_sel:DWORD
	v_fma_f16 v5, v22, v23, -v5
	v_pack_b32_f16 v22, v61, v64
	v_lshrrev_b32_e32 v61, 16, v0
	v_sub_f16_e32 v23, v0, v63
	v_sub_f16_e32 v5, v61, v5
	v_pack_b32_f16 v63, v23, v5
	ds_write2_b32 v31, v22, v63 offset1:96
	v_lshrrev_b32_e32 v22, 16, v3
	v_mul_f16_sdwa v31, v3, v48 dst_sel:DWORD dst_unused:UNUSED_PAD src0_sel:DWORD src1_sel:WORD_1
	v_fma_f16 v31, v22, v48, -v31
	v_mul_f16_sdwa v22, v22, v48 dst_sel:DWORD dst_unused:UNUSED_PAD src0_sel:DWORD src1_sel:WORD_1
	v_fma_f16 v3, v3, v48, v22
	v_fma_f16 v5, v61, 2.0, -v5
	v_fma_f16 v0, v0, 2.0, -v23
	v_lshrrev_b32_e32 v22, 16, v1
	v_sub_f16_e32 v3, v1, v3
	v_pack_b32_f16 v0, v0, v5
	v_sub_f16_e32 v5, v22, v31
	v_fma_f16 v1, v1, 2.0, -v3
	v_fma_f16 v22, v22, 2.0, -v5
	v_pack_b32_f16 v1, v1, v22
	ds_write2_b32 v37, v0, v1 offset0:64 offset1:160
	v_lshrrev_b32_e32 v0, 16, v4
	v_mul_f16_sdwa v1, v0, v49 dst_sel:DWORD dst_unused:UNUSED_PAD src0_sel:DWORD src1_sel:WORD_1
	v_fma_f16 v1, v4, v49, v1
	v_mul_f16_sdwa v4, v4, v49 dst_sel:DWORD dst_unused:UNUSED_PAD src0_sel:DWORD src1_sel:WORD_1
	v_fma_f16 v0, v0, v49, -v4
	v_lshrrev_b32_e32 v4, 16, v6
	v_sub_f16_e32 v1, v6, v1
	v_sub_f16_e32 v0, v4, v0
	v_pack_b32_f16 v3, v3, v5
	v_pack_b32_f16 v5, v1, v0
	ds_write2_b32 v27, v3, v5 offset0:64 offset1:160
	v_lshrrev_b32_e32 v3, 16, v14
	v_mul_f16_sdwa v5, v14, v50 dst_sel:DWORD dst_unused:UNUSED_PAD src0_sel:DWORD src1_sel:WORD_1
	v_fma_f16 v5, v3, v50, -v5
	v_mul_f16_sdwa v3, v3, v50 dst_sel:DWORD dst_unused:UNUSED_PAD src0_sel:DWORD src1_sel:WORD_1
	v_fma_f16 v3, v14, v50, v3
	v_fma_f16 v0, v4, 2.0, -v0
	v_fma_f16 v1, v6, 2.0, -v1
	v_lshrrev_b32_e32 v4, 16, v7
	v_sub_f16_e32 v3, v7, v3
	v_pack_b32_f16 v0, v1, v0
	v_sub_f16_e32 v1, v4, v5
	v_fma_f16 v6, v7, 2.0, -v3
	v_fma_f16 v4, v4, 2.0, -v1
	v_pack_b32_f16 v4, v6, v4
	ds_write2_b32 v32, v0, v4 offset0:128 offset1:224
	v_lshrrev_b32_e32 v0, 16, v15
	v_mul_f16_sdwa v4, v0, v52 dst_sel:DWORD dst_unused:UNUSED_PAD src0_sel:DWORD src1_sel:WORD_1
	v_fma_f16 v4, v15, v52, v4
	v_mul_f16_sdwa v5, v15, v52 dst_sel:DWORD dst_unused:UNUSED_PAD src0_sel:DWORD src1_sel:WORD_1
	v_fma_f16 v0, v0, v52, -v5
	v_pack_b32_f16 v1, v3, v1
	v_sub_f16_e32 v3, v16, v4
	v_lshrrev_b32_e32 v4, 16, v16
	v_sub_f16_e32 v0, v4, v0
	v_pack_b32_f16 v5, v3, v0
	ds_write2_b32 v36, v1, v5 offset0:128 offset1:224
	v_lshrrev_b32_e32 v1, 16, v18
	v_mul_f16_sdwa v5, v18, v51 dst_sel:DWORD dst_unused:UNUSED_PAD src0_sel:DWORD src1_sel:WORD_1
	v_fma_f16 v5, v1, v51, -v5
	v_mul_f16_sdwa v1, v1, v51 dst_sel:DWORD dst_unused:UNUSED_PAD src0_sel:DWORD src1_sel:WORD_1
	v_fma_f16 v1, v18, v51, v1
	v_fma_f16 v0, v4, 2.0, -v0
	v_fma_f16 v3, v16, 2.0, -v3
	v_lshrrev_b32_e32 v4, 16, v17
	v_sub_f16_e32 v1, v17, v1
	v_pack_b32_f16 v0, v3, v0
	v_sub_f16_e32 v3, v4, v5
	v_fma_f16 v6, v17, 2.0, -v1
	v_fma_f16 v4, v4, 2.0, -v3
	v_pack_b32_f16 v4, v6, v4
	ds_write2_b32 v26, v0, v4 offset0:64 offset1:160
	v_lshrrev_b32_e32 v0, 16, v19
	v_mul_f16_sdwa v4, v0, v53 dst_sel:DWORD dst_unused:UNUSED_PAD src0_sel:DWORD src1_sel:WORD_1
	v_fma_f16 v4, v19, v53, v4
	v_mul_f16_sdwa v5, v19, v53 dst_sel:DWORD dst_unused:UNUSED_PAD src0_sel:DWORD src1_sel:WORD_1
	v_fma_f16 v0, v0, v53, -v5
	v_pack_b32_f16 v1, v1, v3
	v_sub_f16_e32 v3, v20, v4
	v_lshrrev_b32_e32 v4, 16, v20
	v_sub_f16_e32 v0, v4, v0
	v_pack_b32_f16 v5, v3, v0
	ds_write2_b32 v30, v1, v5 offset0:64 offset1:160
	v_lshrrev_b32_e32 v1, 16, v38
	v_mul_f16_sdwa v5, v38, v54 dst_sel:DWORD dst_unused:UNUSED_PAD src0_sel:DWORD src1_sel:WORD_1
	v_fma_f16 v5, v1, v54, -v5
	v_mul_f16_sdwa v1, v1, v54 dst_sel:DWORD dst_unused:UNUSED_PAD src0_sel:DWORD src1_sel:WORD_1
	v_fma_f16 v1, v38, v54, v1
	v_fma_f16 v0, v4, 2.0, -v0
	v_fma_f16 v3, v20, 2.0, -v3
	v_lshrrev_b32_e32 v4, 16, v21
	v_sub_f16_e32 v1, v21, v1
	v_pack_b32_f16 v0, v3, v0
	v_sub_f16_e32 v3, v4, v5
	v_fma_f16 v6, v21, 2.0, -v1
	v_fma_f16 v4, v4, 2.0, -v3
	v_pack_b32_f16 v4, v6, v4
	ds_write2_b32 v35, v0, v4 offset1:96
	v_lshrrev_b32_e32 v0, 16, v39
	v_mul_f16_sdwa v5, v39, v55 dst_sel:DWORD dst_unused:UNUSED_PAD src0_sel:DWORD src1_sel:WORD_1
	v_mul_f16_sdwa v4, v0, v55 dst_sel:DWORD dst_unused:UNUSED_PAD src0_sel:DWORD src1_sel:WORD_1
	v_fma_f16 v0, v0, v55, -v5
	v_lshrrev_b32_e32 v5, 16, v42
	v_mul_f16_sdwa v6, v42, v56 dst_sel:DWORD dst_unused:UNUSED_PAD src0_sel:DWORD src1_sel:WORD_1
	v_lshrrev_b32_e32 v17, 16, v47
	v_mul_f16_sdwa v19, v47, v59 dst_sel:DWORD dst_unused:UNUSED_PAD src0_sel:DWORD src1_sel:WORD_1
	v_fma_f16 v4, v39, v55, v4
	v_fma_f16 v6, v5, v56, -v6
	v_mul_f16_sdwa v5, v5, v56 dst_sel:DWORD dst_unused:UNUSED_PAD src0_sel:DWORD src1_sel:WORD_1
	v_lshrrev_b32_e32 v7, 16, v43
	v_mul_f16_sdwa v15, v43, v58 dst_sel:DWORD dst_unused:UNUSED_PAD src0_sel:DWORD src1_sel:WORD_1
	v_mul_f16_sdwa v18, v17, v59 dst_sel:DWORD dst_unused:UNUSED_PAD src0_sel:DWORD src1_sel:WORD_1
	v_fma_f16 v17, v17, v59, -v19
	v_lshrrev_b32_e32 v19, 16, v40
	v_fma_f16 v5, v42, v56, v5
	v_mul_f16_sdwa v14, v7, v58 dst_sel:DWORD dst_unused:UNUSED_PAD src0_sel:DWORD src1_sel:WORD_1
	v_fma_f16 v7, v7, v58, -v15
	v_lshrrev_b32_e32 v15, 16, v46
	v_mul_f16_sdwa v16, v46, v57 dst_sel:DWORD dst_unused:UNUSED_PAD src0_sel:DWORD src1_sel:WORD_1
	v_sub_f16_e32 v4, v40, v4
	v_lshrrev_b32_e32 v20, 16, v41
	v_sub_f16_e32 v0, v19, v0
	v_fma_f16 v16, v15, v57, -v16
	v_mul_f16_sdwa v15, v15, v57 dst_sel:DWORD dst_unused:UNUSED_PAD src0_sel:DWORD src1_sel:WORD_1
	v_sub_f16_e32 v5, v41, v5
	v_fma_f16 v21, v40, 2.0, -v4
	v_pack_b32_f16 v1, v1, v3
	v_fma_f16 v3, v19, 2.0, -v0
	v_pack_b32_f16 v0, v4, v0
	v_sub_f16_e32 v4, v20, v6
	v_fma_f16 v14, v43, v58, v14
	v_fma_f16 v15, v46, v57, v15
	v_fma_f16 v22, v41, 2.0, -v5
	v_lshrrev_b32_e32 v23, 16, v44
	v_lshrrev_b32_e32 v26, 16, v45
	v_fma_f16 v6, v20, 2.0, -v4
	v_fma_f16 v18, v47, v59, v18
	v_sub_f16_e32 v14, v44, v14
	v_sub_f16_e32 v15, v45, v15
	v_lshrrev_b32_e32 v31, 16, v2
	v_pack_b32_f16 v3, v21, v3
	v_sub_f16_e32 v7, v23, v7
	v_sub_f16_e32 v16, v26, v16
	ds_write2_b32 v25, v1, v0 offset1:96
	v_pack_b32_f16 v0, v22, v6
	v_fma_f16 v27, v44, 2.0, -v14
	v_fma_f16 v30, v45, 2.0, -v15
	v_sub_f16_e32 v18, v2, v18
	v_fma_f16 v19, v23, 2.0, -v7
	v_fma_f16 v20, v26, 2.0, -v16
	v_sub_f16_e32 v17, v31, v17
	ds_write2_b32 v28, v3, v0 offset0:64 offset1:160
	v_pack_b32_f16 v0, v5, v4
	v_pack_b32_f16 v3, v14, v7
	v_fma_f16 v2, v2, 2.0, -v18
	v_fma_f16 v21, v31, 2.0, -v17
	v_pack_b32_f16 v1, v27, v19
	ds_write2_b32 v34, v0, v3 offset0:64 offset1:160
	v_pack_b32_f16 v0, v30, v20
	v_pack_b32_f16 v32, v60, v62
	ds_write2_b32 v24, v1, v0 offset0:128 offset1:224
	v_pack_b32_f16 v1, v2, v21
	;; [unrolled: 3-line block ×3, first 2 shown]
	ds_write2_b32 v29, v0, v1 offset0:128 offset1:224
	s_waitcnt lgkmcnt(0)
	s_barrier
	s_and_saveexec_b64 s[4:5], s[0:1]
	s_cbranch_execz .LBB0_21
; %bb.20:
	v_mul_lo_u32 v2, s3, v12
	v_mul_lo_u32 v3, s2, v13
	v_mad_u64_u32 v[0:1], s[0:1], s2, v12, 0
	v_mov_b32_e32 v5, s11
	v_lshl_add_u32 v4, v10, 2, 0
	v_add3_u32 v1, v1, v3, v2
	v_lshlrev_b64 v[0:1], 2, v[0:1]
	ds_read2_b32 v[2:3], v4 offset1:96
	v_add_co_u32_e32 v6, vcc, s10, v0
	v_addc_co_u32_e32 v5, vcc, v5, v1, vcc
	v_lshlrev_b64 v[0:1], 2, v[8:9]
	v_add_co_u32_e32 v6, vcc, v6, v0
	v_addc_co_u32_e32 v5, vcc, v5, v1, vcc
	v_lshlrev_b64 v[0:1], 2, v[10:11]
	v_add_co_u32_e32 v0, vcc, v6, v0
	v_addc_co_u32_e32 v1, vcc, v5, v1, vcc
	s_waitcnt lgkmcnt(0)
	global_store_dword v[0:1], v2, off
	v_add_u32_e32 v0, 0x60, v10
	v_mov_b32_e32 v1, v11
	v_lshlrev_b64 v[0:1], 2, v[0:1]
	v_add_u32_e32 v2, 0x200, v4
	v_add_co_u32_e32 v0, vcc, v6, v0
	v_addc_co_u32_e32 v1, vcc, v5, v1, vcc
	global_store_dword v[0:1], v3, off
	v_add_u32_e32 v0, 0xc0, v10
	v_mov_b32_e32 v1, v11
	ds_read2_b32 v[2:3], v2 offset0:64 offset1:160
	v_lshlrev_b64 v[0:1], 2, v[0:1]
	v_add_co_u32_e32 v0, vcc, v6, v0
	v_addc_co_u32_e32 v1, vcc, v5, v1, vcc
	s_waitcnt lgkmcnt(0)
	global_store_dword v[0:1], v2, off
	v_add_u32_e32 v0, 0x120, v10
	v_mov_b32_e32 v1, v11
	v_lshlrev_b64 v[0:1], 2, v[0:1]
	v_add_u32_e32 v2, 0x400, v4
	v_add_co_u32_e32 v0, vcc, v6, v0
	v_addc_co_u32_e32 v1, vcc, v5, v1, vcc
	global_store_dword v[0:1], v3, off
	v_add_u32_e32 v0, 0x180, v10
	v_mov_b32_e32 v1, v11
	ds_read2_b32 v[2:3], v2 offset0:128 offset1:224
	v_lshlrev_b64 v[0:1], 2, v[0:1]
	v_add_co_u32_e32 v0, vcc, v6, v0
	v_addc_co_u32_e32 v1, vcc, v5, v1, vcc
	s_waitcnt lgkmcnt(0)
	global_store_dword v[0:1], v2, off
	v_add_u32_e32 v0, 0x1e0, v10
	v_mov_b32_e32 v1, v11
	v_lshlrev_b64 v[0:1], 2, v[0:1]
	v_add_u32_e32 v2, 0x800, v4
	v_add_co_u32_e32 v0, vcc, v6, v0
	v_addc_co_u32_e32 v1, vcc, v5, v1, vcc
	global_store_dword v[0:1], v3, off
	v_add_u32_e32 v0, 0x240, v10
	v_mov_b32_e32 v1, v11
	ds_read2_b32 v[2:3], v2 offset0:64 offset1:160
	v_lshlrev_b64 v[0:1], 2, v[0:1]
	v_add_co_u32_e32 v0, vcc, v6, v0
	v_addc_co_u32_e32 v1, vcc, v5, v1, vcc
	s_waitcnt lgkmcnt(0)
	global_store_dword v[0:1], v2, off
	v_add_u32_e32 v0, 0x2a0, v10
	v_mov_b32_e32 v1, v11
	v_lshlrev_b64 v[0:1], 2, v[0:1]
	v_add_u32_e32 v2, 0xc00, v4
	v_add_co_u32_e32 v0, vcc, v6, v0
	v_addc_co_u32_e32 v1, vcc, v5, v1, vcc
	global_store_dword v[0:1], v3, off
	v_add_u32_e32 v0, 0x300, v10
	v_mov_b32_e32 v1, v11
	ds_read2_b32 v[2:3], v2 offset1:96
	v_lshlrev_b64 v[0:1], 2, v[0:1]
	v_add_co_u32_e32 v0, vcc, v6, v0
	v_addc_co_u32_e32 v1, vcc, v5, v1, vcc
	s_waitcnt lgkmcnt(0)
	global_store_dword v[0:1], v2, off
	v_add_u32_e32 v0, 0x360, v10
	v_mov_b32_e32 v1, v11
	v_lshlrev_b64 v[0:1], 2, v[0:1]
	v_add_u32_e32 v2, 0xe00, v4
	v_add_co_u32_e32 v0, vcc, v6, v0
	v_addc_co_u32_e32 v1, vcc, v5, v1, vcc
	global_store_dword v[0:1], v3, off
	v_add_u32_e32 v0, 0x3c0, v10
	v_mov_b32_e32 v1, v11
	ds_read2_b32 v[2:3], v2 offset0:64 offset1:160
	v_lshlrev_b64 v[0:1], 2, v[0:1]
	v_add_co_u32_e32 v0, vcc, v6, v0
	v_addc_co_u32_e32 v1, vcc, v5, v1, vcc
	s_waitcnt lgkmcnt(0)
	global_store_dword v[0:1], v2, off
	v_add_u32_e32 v0, 0x420, v10
	v_mov_b32_e32 v1, v11
	v_lshlrev_b64 v[0:1], 2, v[0:1]
	v_add_u32_e32 v2, 0x1000, v4
	v_add_co_u32_e32 v0, vcc, v6, v0
	v_addc_co_u32_e32 v1, vcc, v5, v1, vcc
	global_store_dword v[0:1], v3, off
	v_add_u32_e32 v0, 0x480, v10
	v_mov_b32_e32 v1, v11
	ds_read2_b32 v[2:3], v2 offset0:128 offset1:224
	v_lshlrev_b64 v[0:1], 2, v[0:1]
	v_add_co_u32_e32 v0, vcc, v6, v0
	v_addc_co_u32_e32 v1, vcc, v5, v1, vcc
	s_waitcnt lgkmcnt(0)
	global_store_dword v[0:1], v2, off
	v_add_u32_e32 v0, 0x4e0, v10
	v_mov_b32_e32 v1, v11
	v_lshlrev_b64 v[0:1], 2, v[0:1]
	v_add_u32_e32 v2, 0x1400, v4
	v_add_co_u32_e32 v0, vcc, v6, v0
	v_addc_co_u32_e32 v1, vcc, v5, v1, vcc
	global_store_dword v[0:1], v3, off
	v_add_u32_e32 v0, 0x540, v10
	v_mov_b32_e32 v1, v11
	ds_read2_b32 v[2:3], v2 offset0:64 offset1:160
	v_lshlrev_b64 v[0:1], 2, v[0:1]
	v_add_co_u32_e32 v0, vcc, v6, v0
	v_addc_co_u32_e32 v1, vcc, v5, v1, vcc
	s_waitcnt lgkmcnt(0)
	global_store_dword v[0:1], v2, off
	v_add_u32_e32 v0, 0x5a0, v10
	v_mov_b32_e32 v1, v11
	v_lshlrev_b64 v[0:1], 2, v[0:1]
	v_add_u32_e32 v2, 0x1800, v4
	v_add_co_u32_e32 v0, vcc, v6, v0
	v_addc_co_u32_e32 v1, vcc, v5, v1, vcc
	global_store_dword v[0:1], v3, off
	v_add_u32_e32 v0, 0x600, v10
	v_mov_b32_e32 v1, v11
	ds_read2_b32 v[2:3], v2 offset1:96
	;; [unrolled: 60-line block ×3, first 2 shown]
	v_lshlrev_b64 v[0:1], 2, v[0:1]
	v_add_co_u32_e32 v0, vcc, v6, v0
	v_addc_co_u32_e32 v1, vcc, v5, v1, vcc
	s_waitcnt lgkmcnt(0)
	global_store_dword v[0:1], v2, off
	v_add_u32_e32 v0, 0x960, v10
	v_mov_b32_e32 v1, v11
	v_lshlrev_b64 v[0:1], 2, v[0:1]
	v_add_u32_e32 v2, 0x2600, v4
	v_add_co_u32_e32 v0, vcc, v6, v0
	v_addc_co_u32_e32 v1, vcc, v5, v1, vcc
	global_store_dword v[0:1], v3, off
	v_add_u32_e32 v0, 0x9c0, v10
	v_mov_b32_e32 v1, v11
	ds_read2_b32 v[2:3], v2 offset0:64 offset1:160
	v_lshlrev_b64 v[0:1], 2, v[0:1]
	v_add_co_u32_e32 v0, vcc, v6, v0
	v_addc_co_u32_e32 v1, vcc, v5, v1, vcc
	s_waitcnt lgkmcnt(0)
	global_store_dword v[0:1], v2, off
	v_add_u32_e32 v0, 0xa20, v10
	v_mov_b32_e32 v1, v11
	v_lshlrev_b64 v[0:1], 2, v[0:1]
	v_add_u32_e32 v2, 0x2800, v4
	v_add_co_u32_e32 v0, vcc, v6, v0
	v_addc_co_u32_e32 v1, vcc, v5, v1, vcc
	global_store_dword v[0:1], v3, off
	v_add_u32_e32 v0, 0xa80, v10
	v_mov_b32_e32 v1, v11
	ds_read2_b32 v[2:3], v2 offset0:128 offset1:224
	v_lshlrev_b64 v[0:1], 2, v[0:1]
	v_add_u32_e32 v10, 0xae0, v10
	v_add_co_u32_e32 v0, vcc, v6, v0
	v_addc_co_u32_e32 v1, vcc, v5, v1, vcc
	s_waitcnt lgkmcnt(0)
	global_store_dword v[0:1], v2, off
	v_lshlrev_b64 v[0:1], 2, v[10:11]
	v_add_co_u32_e32 v0, vcc, v6, v0
	v_addc_co_u32_e32 v1, vcc, v5, v1, vcc
	global_store_dword v[0:1], v3, off
.LBB0_21:
	s_endpgm
	.section	.rodata,"a",@progbits
	.p2align	6, 0x0
	.amdhsa_kernel fft_rtc_back_len2880_factors_10_6_6_2_2_2_wgs_96_tpt_96_halfLds_half_op_CI_CI_unitstride_sbrr_C2R_dirReg
		.amdhsa_group_segment_fixed_size 0
		.amdhsa_private_segment_fixed_size 0
		.amdhsa_kernarg_size 104
		.amdhsa_user_sgpr_count 6
		.amdhsa_user_sgpr_private_segment_buffer 1
		.amdhsa_user_sgpr_dispatch_ptr 0
		.amdhsa_user_sgpr_queue_ptr 0
		.amdhsa_user_sgpr_kernarg_segment_ptr 1
		.amdhsa_user_sgpr_dispatch_id 0
		.amdhsa_user_sgpr_flat_scratch_init 0
		.amdhsa_user_sgpr_private_segment_size 0
		.amdhsa_uses_dynamic_stack 0
		.amdhsa_system_sgpr_private_segment_wavefront_offset 0
		.amdhsa_system_sgpr_workgroup_id_x 1
		.amdhsa_system_sgpr_workgroup_id_y 0
		.amdhsa_system_sgpr_workgroup_id_z 0
		.amdhsa_system_sgpr_workgroup_info 0
		.amdhsa_system_vgpr_workitem_id 0
		.amdhsa_next_free_vgpr 105
		.amdhsa_next_free_sgpr 28
		.amdhsa_reserve_vcc 1
		.amdhsa_reserve_flat_scratch 0
		.amdhsa_float_round_mode_32 0
		.amdhsa_float_round_mode_16_64 0
		.amdhsa_float_denorm_mode_32 3
		.amdhsa_float_denorm_mode_16_64 3
		.amdhsa_dx10_clamp 1
		.amdhsa_ieee_mode 1
		.amdhsa_fp16_overflow 0
		.amdhsa_exception_fp_ieee_invalid_op 0
		.amdhsa_exception_fp_denorm_src 0
		.amdhsa_exception_fp_ieee_div_zero 0
		.amdhsa_exception_fp_ieee_overflow 0
		.amdhsa_exception_fp_ieee_underflow 0
		.amdhsa_exception_fp_ieee_inexact 0
		.amdhsa_exception_int_div_zero 0
	.end_amdhsa_kernel
	.text
.Lfunc_end0:
	.size	fft_rtc_back_len2880_factors_10_6_6_2_2_2_wgs_96_tpt_96_halfLds_half_op_CI_CI_unitstride_sbrr_C2R_dirReg, .Lfunc_end0-fft_rtc_back_len2880_factors_10_6_6_2_2_2_wgs_96_tpt_96_halfLds_half_op_CI_CI_unitstride_sbrr_C2R_dirReg
                                        ; -- End function
	.section	.AMDGPU.csdata,"",@progbits
; Kernel info:
; codeLenInByte = 21008
; NumSgprs: 32
; NumVgprs: 105
; ScratchSize: 0
; MemoryBound: 0
; FloatMode: 240
; IeeeMode: 1
; LDSByteSize: 0 bytes/workgroup (compile time only)
; SGPRBlocks: 3
; VGPRBlocks: 26
; NumSGPRsForWavesPerEU: 32
; NumVGPRsForWavesPerEU: 105
; Occupancy: 2
; WaveLimiterHint : 1
; COMPUTE_PGM_RSRC2:SCRATCH_EN: 0
; COMPUTE_PGM_RSRC2:USER_SGPR: 6
; COMPUTE_PGM_RSRC2:TRAP_HANDLER: 0
; COMPUTE_PGM_RSRC2:TGID_X_EN: 1
; COMPUTE_PGM_RSRC2:TGID_Y_EN: 0
; COMPUTE_PGM_RSRC2:TGID_Z_EN: 0
; COMPUTE_PGM_RSRC2:TIDIG_COMP_CNT: 0
	.type	__hip_cuid_8f18592fa2614e19,@object ; @__hip_cuid_8f18592fa2614e19
	.section	.bss,"aw",@nobits
	.globl	__hip_cuid_8f18592fa2614e19
__hip_cuid_8f18592fa2614e19:
	.byte	0                               ; 0x0
	.size	__hip_cuid_8f18592fa2614e19, 1

	.ident	"AMD clang version 19.0.0git (https://github.com/RadeonOpenCompute/llvm-project roc-6.4.0 25133 c7fe45cf4b819c5991fe208aaa96edf142730f1d)"
	.section	".note.GNU-stack","",@progbits
	.addrsig
	.addrsig_sym __hip_cuid_8f18592fa2614e19
	.amdgpu_metadata
---
amdhsa.kernels:
  - .args:
      - .actual_access:  read_only
        .address_space:  global
        .offset:         0
        .size:           8
        .value_kind:     global_buffer
      - .offset:         8
        .size:           8
        .value_kind:     by_value
      - .actual_access:  read_only
        .address_space:  global
        .offset:         16
        .size:           8
        .value_kind:     global_buffer
      - .actual_access:  read_only
        .address_space:  global
        .offset:         24
        .size:           8
        .value_kind:     global_buffer
      - .actual_access:  read_only
        .address_space:  global
        .offset:         32
        .size:           8
        .value_kind:     global_buffer
      - .offset:         40
        .size:           8
        .value_kind:     by_value
      - .actual_access:  read_only
        .address_space:  global
        .offset:         48
        .size:           8
        .value_kind:     global_buffer
      - .actual_access:  read_only
        .address_space:  global
        .offset:         56
        .size:           8
        .value_kind:     global_buffer
      - .offset:         64
        .size:           4
        .value_kind:     by_value
      - .actual_access:  read_only
        .address_space:  global
        .offset:         72
        .size:           8
        .value_kind:     global_buffer
      - .actual_access:  read_only
        .address_space:  global
        .offset:         80
        .size:           8
        .value_kind:     global_buffer
      - .actual_access:  read_only
        .address_space:  global
        .offset:         88
        .size:           8
        .value_kind:     global_buffer
      - .actual_access:  write_only
        .address_space:  global
        .offset:         96
        .size:           8
        .value_kind:     global_buffer
    .group_segment_fixed_size: 0
    .kernarg_segment_align: 8
    .kernarg_segment_size: 104
    .language:       OpenCL C
    .language_version:
      - 2
      - 0
    .max_flat_workgroup_size: 96
    .name:           fft_rtc_back_len2880_factors_10_6_6_2_2_2_wgs_96_tpt_96_halfLds_half_op_CI_CI_unitstride_sbrr_C2R_dirReg
    .private_segment_fixed_size: 0
    .sgpr_count:     32
    .sgpr_spill_count: 0
    .symbol:         fft_rtc_back_len2880_factors_10_6_6_2_2_2_wgs_96_tpt_96_halfLds_half_op_CI_CI_unitstride_sbrr_C2R_dirReg.kd
    .uniform_work_group_size: 1
    .uses_dynamic_stack: false
    .vgpr_count:     105
    .vgpr_spill_count: 0
    .wavefront_size: 64
amdhsa.target:   amdgcn-amd-amdhsa--gfx906
amdhsa.version:
  - 1
  - 2
...

	.end_amdgpu_metadata
